;; amdgpu-corpus repo=ROCm/rocFFT kind=compiled arch=gfx1100 opt=O3
	.text
	.amdgcn_target "amdgcn-amd-amdhsa--gfx1100"
	.amdhsa_code_object_version 6
	.protected	fft_rtc_fwd_len595_factors_7_17_5_wgs_51_tpt_17_halfLds_dp_ip_CI_unitstride_sbrr_dirReg ; -- Begin function fft_rtc_fwd_len595_factors_7_17_5_wgs_51_tpt_17_halfLds_dp_ip_CI_unitstride_sbrr_dirReg
	.globl	fft_rtc_fwd_len595_factors_7_17_5_wgs_51_tpt_17_halfLds_dp_ip_CI_unitstride_sbrr_dirReg
	.p2align	8
	.type	fft_rtc_fwd_len595_factors_7_17_5_wgs_51_tpt_17_halfLds_dp_ip_CI_unitstride_sbrr_dirReg,@function
fft_rtc_fwd_len595_factors_7_17_5_wgs_51_tpt_17_halfLds_dp_ip_CI_unitstride_sbrr_dirReg: ; @fft_rtc_fwd_len595_factors_7_17_5_wgs_51_tpt_17_halfLds_dp_ip_CI_unitstride_sbrr_dirReg
; %bb.0:
	s_load_b128 s[4:7], s[0:1], 0x0
	v_mul_u32_u24_e32 v1, 0xf10, v0
	s_clause 0x1
	s_load_b64 s[8:9], s[0:1], 0x50
	s_load_b64 s[10:11], s[0:1], 0x18
	v_mov_b32_e32 v6, 0
	v_lshrrev_b32_e32 v2, 16, v1
	v_mov_b32_e32 v1, 0
	s_delay_alu instid0(VALU_DEP_2) | instskip(NEXT) | instid1(VALU_DEP_2)
	v_mad_u64_u32 v[4:5], null, s15, 3, v[2:3]
	v_mov_b32_e32 v5, v1
	s_delay_alu instid0(VALU_DEP_2) | instskip(SKIP_2) | instid1(VALU_DEP_3)
	v_dual_mov_b32 v7, 0 :: v_dual_mov_b32 v2, v4
	s_waitcnt lgkmcnt(0)
	v_cmp_lt_u64_e64 s2, s[6:7], 2
	v_mov_b32_e32 v3, v5
	s_delay_alu instid0(VALU_DEP_2)
	s_and_b32 vcc_lo, exec_lo, s2
	s_cbranch_vccnz .LBB0_8
; %bb.1:
	s_load_b64 s[2:3], s[0:1], 0x10
	v_dual_mov_b32 v6, 0 :: v_dual_mov_b32 v9, v5
	s_add_u32 s12, s10, 8
	v_dual_mov_b32 v7, 0 :: v_dual_mov_b32 v8, v4
	s_addc_u32 s13, s11, 0
	s_mov_b64 s[16:17], 1
	s_waitcnt lgkmcnt(0)
	s_add_u32 s14, s2, 8
	s_addc_u32 s15, s3, 0
.LBB0_2:                                ; =>This Inner Loop Header: Depth=1
	s_load_b64 s[18:19], s[14:15], 0x0
	s_waitcnt lgkmcnt(0)
	s_delay_alu instid0(VALU_DEP_1) | instskip(NEXT) | instid1(VALU_DEP_1)
	v_or_b32_e32 v2, s19, v9
	v_cmp_ne_u64_e32 vcc_lo, 0, v[1:2]
                                        ; implicit-def: $vgpr2_vgpr3
	s_and_saveexec_b32 s2, vcc_lo
	s_delay_alu instid0(SALU_CYCLE_1)
	s_xor_b32 s3, exec_lo, s2
	s_cbranch_execz .LBB0_4
; %bb.3:                                ;   in Loop: Header=BB0_2 Depth=1
	v_cvt_f32_u32_e32 v2, s18
	v_cvt_f32_u32_e32 v3, s19
	s_sub_u32 s2, 0, s18
	s_subb_u32 s20, 0, s19
	s_delay_alu instid0(VALU_DEP_1) | instskip(NEXT) | instid1(VALU_DEP_1)
	v_fmac_f32_e32 v2, 0x4f800000, v3
	v_rcp_f32_e32 v2, v2
	s_waitcnt_depctr 0xfff
	v_mul_f32_e32 v2, 0x5f7ffffc, v2
	s_delay_alu instid0(VALU_DEP_1) | instskip(NEXT) | instid1(VALU_DEP_1)
	v_mul_f32_e32 v3, 0x2f800000, v2
	v_trunc_f32_e32 v3, v3
	s_delay_alu instid0(VALU_DEP_1) | instskip(SKIP_1) | instid1(VALU_DEP_2)
	v_fmac_f32_e32 v2, 0xcf800000, v3
	v_cvt_u32_f32_e32 v3, v3
	v_cvt_u32_f32_e32 v2, v2
	s_delay_alu instid0(VALU_DEP_2) | instskip(NEXT) | instid1(VALU_DEP_2)
	v_mul_lo_u32 v5, s2, v3
	v_mul_hi_u32 v10, s2, v2
	v_mul_lo_u32 v11, s20, v2
	s_delay_alu instid0(VALU_DEP_2) | instskip(SKIP_1) | instid1(VALU_DEP_2)
	v_add_nc_u32_e32 v5, v10, v5
	v_mul_lo_u32 v10, s2, v2
	v_add_nc_u32_e32 v5, v5, v11
	s_delay_alu instid0(VALU_DEP_2) | instskip(NEXT) | instid1(VALU_DEP_2)
	v_mul_hi_u32 v11, v2, v10
	v_mul_lo_u32 v12, v2, v5
	v_mul_hi_u32 v13, v2, v5
	v_mul_hi_u32 v14, v3, v10
	v_mul_lo_u32 v10, v3, v10
	v_mul_hi_u32 v15, v3, v5
	v_mul_lo_u32 v5, v3, v5
	v_add_co_u32 v11, vcc_lo, v11, v12
	v_add_co_ci_u32_e32 v12, vcc_lo, 0, v13, vcc_lo
	s_delay_alu instid0(VALU_DEP_2) | instskip(NEXT) | instid1(VALU_DEP_2)
	v_add_co_u32 v10, vcc_lo, v11, v10
	v_add_co_ci_u32_e32 v10, vcc_lo, v12, v14, vcc_lo
	v_add_co_ci_u32_e32 v11, vcc_lo, 0, v15, vcc_lo
	s_delay_alu instid0(VALU_DEP_2) | instskip(NEXT) | instid1(VALU_DEP_2)
	v_add_co_u32 v5, vcc_lo, v10, v5
	v_add_co_ci_u32_e32 v10, vcc_lo, 0, v11, vcc_lo
	s_delay_alu instid0(VALU_DEP_2) | instskip(NEXT) | instid1(VALU_DEP_2)
	v_add_co_u32 v2, vcc_lo, v2, v5
	v_add_co_ci_u32_e32 v3, vcc_lo, v3, v10, vcc_lo
	s_delay_alu instid0(VALU_DEP_2) | instskip(SKIP_1) | instid1(VALU_DEP_3)
	v_mul_hi_u32 v5, s2, v2
	v_mul_lo_u32 v11, s20, v2
	v_mul_lo_u32 v10, s2, v3
	s_delay_alu instid0(VALU_DEP_1) | instskip(SKIP_1) | instid1(VALU_DEP_2)
	v_add_nc_u32_e32 v5, v5, v10
	v_mul_lo_u32 v10, s2, v2
	v_add_nc_u32_e32 v5, v5, v11
	s_delay_alu instid0(VALU_DEP_2) | instskip(NEXT) | instid1(VALU_DEP_2)
	v_mul_hi_u32 v11, v2, v10
	v_mul_lo_u32 v12, v2, v5
	v_mul_hi_u32 v13, v2, v5
	v_mul_hi_u32 v14, v3, v10
	v_mul_lo_u32 v10, v3, v10
	v_mul_hi_u32 v15, v3, v5
	v_mul_lo_u32 v5, v3, v5
	v_add_co_u32 v11, vcc_lo, v11, v12
	v_add_co_ci_u32_e32 v12, vcc_lo, 0, v13, vcc_lo
	s_delay_alu instid0(VALU_DEP_2) | instskip(NEXT) | instid1(VALU_DEP_2)
	v_add_co_u32 v10, vcc_lo, v11, v10
	v_add_co_ci_u32_e32 v10, vcc_lo, v12, v14, vcc_lo
	v_add_co_ci_u32_e32 v11, vcc_lo, 0, v15, vcc_lo
	s_delay_alu instid0(VALU_DEP_2) | instskip(NEXT) | instid1(VALU_DEP_2)
	v_add_co_u32 v5, vcc_lo, v10, v5
	v_add_co_ci_u32_e32 v10, vcc_lo, 0, v11, vcc_lo
	s_delay_alu instid0(VALU_DEP_2) | instskip(NEXT) | instid1(VALU_DEP_2)
	v_add_co_u32 v5, vcc_lo, v2, v5
	v_add_co_ci_u32_e32 v14, vcc_lo, v3, v10, vcc_lo
	s_delay_alu instid0(VALU_DEP_2) | instskip(SKIP_1) | instid1(VALU_DEP_3)
	v_mul_hi_u32 v15, v8, v5
	v_mad_u64_u32 v[10:11], null, v9, v5, 0
	v_mad_u64_u32 v[2:3], null, v8, v14, 0
	;; [unrolled: 1-line block ×3, first 2 shown]
	s_delay_alu instid0(VALU_DEP_2) | instskip(NEXT) | instid1(VALU_DEP_3)
	v_add_co_u32 v2, vcc_lo, v15, v2
	v_add_co_ci_u32_e32 v3, vcc_lo, 0, v3, vcc_lo
	s_delay_alu instid0(VALU_DEP_2) | instskip(NEXT) | instid1(VALU_DEP_2)
	v_add_co_u32 v2, vcc_lo, v2, v10
	v_add_co_ci_u32_e32 v2, vcc_lo, v3, v11, vcc_lo
	v_add_co_ci_u32_e32 v3, vcc_lo, 0, v13, vcc_lo
	s_delay_alu instid0(VALU_DEP_2) | instskip(NEXT) | instid1(VALU_DEP_2)
	v_add_co_u32 v5, vcc_lo, v2, v12
	v_add_co_ci_u32_e32 v10, vcc_lo, 0, v3, vcc_lo
	s_delay_alu instid0(VALU_DEP_2) | instskip(SKIP_1) | instid1(VALU_DEP_3)
	v_mul_lo_u32 v11, s19, v5
	v_mad_u64_u32 v[2:3], null, s18, v5, 0
	v_mul_lo_u32 v12, s18, v10
	s_delay_alu instid0(VALU_DEP_2) | instskip(NEXT) | instid1(VALU_DEP_2)
	v_sub_co_u32 v2, vcc_lo, v8, v2
	v_add3_u32 v3, v3, v12, v11
	s_delay_alu instid0(VALU_DEP_1) | instskip(NEXT) | instid1(VALU_DEP_1)
	v_sub_nc_u32_e32 v11, v9, v3
	v_subrev_co_ci_u32_e64 v11, s2, s19, v11, vcc_lo
	v_add_co_u32 v12, s2, v5, 2
	s_delay_alu instid0(VALU_DEP_1) | instskip(SKIP_3) | instid1(VALU_DEP_3)
	v_add_co_ci_u32_e64 v13, s2, 0, v10, s2
	v_sub_co_u32 v14, s2, v2, s18
	v_sub_co_ci_u32_e32 v3, vcc_lo, v9, v3, vcc_lo
	v_subrev_co_ci_u32_e64 v11, s2, 0, v11, s2
	v_cmp_le_u32_e32 vcc_lo, s18, v14
	s_delay_alu instid0(VALU_DEP_3) | instskip(SKIP_1) | instid1(VALU_DEP_4)
	v_cmp_eq_u32_e64 s2, s19, v3
	v_cndmask_b32_e64 v14, 0, -1, vcc_lo
	v_cmp_le_u32_e32 vcc_lo, s19, v11
	v_cndmask_b32_e64 v15, 0, -1, vcc_lo
	v_cmp_le_u32_e32 vcc_lo, s18, v2
	;; [unrolled: 2-line block ×3, first 2 shown]
	v_cndmask_b32_e64 v16, 0, -1, vcc_lo
	v_cmp_eq_u32_e32 vcc_lo, s19, v11
	s_delay_alu instid0(VALU_DEP_2) | instskip(SKIP_3) | instid1(VALU_DEP_3)
	v_cndmask_b32_e64 v2, v16, v2, s2
	v_cndmask_b32_e32 v11, v15, v14, vcc_lo
	v_add_co_u32 v14, vcc_lo, v5, 1
	v_add_co_ci_u32_e32 v15, vcc_lo, 0, v10, vcc_lo
	v_cmp_ne_u32_e32 vcc_lo, 0, v11
	s_delay_alu instid0(VALU_DEP_2) | instskip(NEXT) | instid1(VALU_DEP_4)
	v_cndmask_b32_e32 v3, v15, v13, vcc_lo
	v_cndmask_b32_e32 v11, v14, v12, vcc_lo
	v_cmp_ne_u32_e32 vcc_lo, 0, v2
	s_delay_alu instid0(VALU_DEP_3) | instskip(NEXT) | instid1(VALU_DEP_3)
	v_cndmask_b32_e32 v3, v10, v3, vcc_lo
	v_cndmask_b32_e32 v2, v5, v11, vcc_lo
.LBB0_4:                                ;   in Loop: Header=BB0_2 Depth=1
	s_and_not1_saveexec_b32 s2, s3
	s_cbranch_execz .LBB0_6
; %bb.5:                                ;   in Loop: Header=BB0_2 Depth=1
	v_cvt_f32_u32_e32 v2, s18
	s_sub_i32 s3, 0, s18
	s_delay_alu instid0(VALU_DEP_1) | instskip(SKIP_2) | instid1(VALU_DEP_1)
	v_rcp_iflag_f32_e32 v2, v2
	s_waitcnt_depctr 0xfff
	v_mul_f32_e32 v2, 0x4f7ffffe, v2
	v_cvt_u32_f32_e32 v2, v2
	s_delay_alu instid0(VALU_DEP_1) | instskip(NEXT) | instid1(VALU_DEP_1)
	v_mul_lo_u32 v3, s3, v2
	v_mul_hi_u32 v3, v2, v3
	s_delay_alu instid0(VALU_DEP_1) | instskip(NEXT) | instid1(VALU_DEP_1)
	v_add_nc_u32_e32 v2, v2, v3
	v_mul_hi_u32 v2, v8, v2
	s_delay_alu instid0(VALU_DEP_1) | instskip(SKIP_1) | instid1(VALU_DEP_2)
	v_mul_lo_u32 v3, v2, s18
	v_add_nc_u32_e32 v5, 1, v2
	v_sub_nc_u32_e32 v3, v8, v3
	s_delay_alu instid0(VALU_DEP_1) | instskip(SKIP_1) | instid1(VALU_DEP_2)
	v_subrev_nc_u32_e32 v10, s18, v3
	v_cmp_le_u32_e32 vcc_lo, s18, v3
	v_dual_cndmask_b32 v3, v3, v10 :: v_dual_cndmask_b32 v2, v2, v5
	s_delay_alu instid0(VALU_DEP_1) | instskip(NEXT) | instid1(VALU_DEP_2)
	v_cmp_le_u32_e32 vcc_lo, s18, v3
	v_add_nc_u32_e32 v5, 1, v2
	s_delay_alu instid0(VALU_DEP_1)
	v_dual_mov_b32 v3, v1 :: v_dual_cndmask_b32 v2, v2, v5
.LBB0_6:                                ;   in Loop: Header=BB0_2 Depth=1
	s_or_b32 exec_lo, exec_lo, s2
	s_load_b64 s[2:3], s[12:13], 0x0
	s_delay_alu instid0(VALU_DEP_1) | instskip(NEXT) | instid1(VALU_DEP_2)
	v_mul_lo_u32 v5, v3, s18
	v_mul_lo_u32 v12, v2, s19
	v_mad_u64_u32 v[10:11], null, v2, s18, 0
	s_add_u32 s16, s16, 1
	s_addc_u32 s17, s17, 0
	s_add_u32 s12, s12, 8
	s_addc_u32 s13, s13, 0
	;; [unrolled: 2-line block ×3, first 2 shown]
	s_delay_alu instid0(VALU_DEP_1) | instskip(SKIP_1) | instid1(VALU_DEP_2)
	v_add3_u32 v5, v11, v12, v5
	v_sub_co_u32 v10, vcc_lo, v8, v10
	v_sub_co_ci_u32_e32 v5, vcc_lo, v9, v5, vcc_lo
	s_waitcnt lgkmcnt(0)
	s_delay_alu instid0(VALU_DEP_2) | instskip(NEXT) | instid1(VALU_DEP_2)
	v_mul_lo_u32 v11, s3, v10
	v_mul_lo_u32 v5, s2, v5
	v_mad_u64_u32 v[8:9], null, s2, v10, v[6:7]
	v_cmp_ge_u64_e64 s2, s[16:17], s[6:7]
	s_delay_alu instid0(VALU_DEP_1) | instskip(NEXT) | instid1(VALU_DEP_2)
	s_and_b32 vcc_lo, exec_lo, s2
	v_add3_u32 v7, v11, v9, v5
	s_delay_alu instid0(VALU_DEP_3)
	v_mov_b32_e32 v6, v8
	s_cbranch_vccnz .LBB0_8
; %bb.7:                                ;   in Loop: Header=BB0_2 Depth=1
	v_dual_mov_b32 v9, v3 :: v_dual_mov_b32 v8, v2
	s_branch .LBB0_2
.LBB0_8:
	s_lshl_b64 s[2:3], s[6:7], 3
                                        ; implicit-def: $vgpr208_vgpr209
                                        ; implicit-def: $vgpr196_vgpr197
                                        ; implicit-def: $vgpr188_vgpr189
                                        ; implicit-def: $vgpr176_vgpr177
                                        ; implicit-def: $vgpr172_vgpr173
                                        ; implicit-def: $vgpr160_vgpr161
                                        ; implicit-def: $vgpr112_vgpr113
                                        ; implicit-def: $vgpr216_vgpr217
                                        ; implicit-def: $vgpr204_vgpr205
                                        ; implicit-def: $vgpr180_vgpr181
                                        ; implicit-def: $vgpr184_vgpr185
                                        ; implicit-def: $vgpr148_vgpr149
                                        ; implicit-def: $vgpr164_vgpr165
                                        ; implicit-def: $vgpr116_vgpr117
                                        ; implicit-def: $vgpr192_vgpr193
                                        ; implicit-def: $vgpr200_vgpr201
                                        ; implicit-def: $vgpr120_vgpr121
                                        ; implicit-def: $vgpr144_vgpr145
                                        ; implicit-def: $vgpr124_vgpr125
                                        ; implicit-def: $vgpr100_vgpr101
                                        ; implicit-def: $vgpr228_vgpr229
                                        ; implicit-def: $vgpr212_vgpr213
                                        ; implicit-def: $vgpr128_vgpr129
                                        ; implicit-def: $vgpr136_vgpr137
                                        ; implicit-def: $vgpr132_vgpr133
                                        ; implicit-def: $vgpr140_vgpr141
                                        ; implicit-def: $vgpr104_vgpr105
                                        ; implicit-def: $vgpr232_vgpr233
                                        ; implicit-def: $vgpr224_vgpr225
                                        ; implicit-def: $vgpr152_vgpr153
                                        ; implicit-def: $vgpr220_vgpr221
                                        ; implicit-def: $vgpr156_vgpr157
                                        ; implicit-def: $vgpr168_vgpr169
                                        ; implicit-def: $vgpr108_vgpr109
	s_delay_alu instid0(SALU_CYCLE_1)
	s_add_u32 s2, s10, s2
	s_addc_u32 s3, s11, s3
	s_load_b64 s[2:3], s[2:3], 0x0
	s_load_b64 s[0:1], s[0:1], 0x20
	s_waitcnt lgkmcnt(0)
	v_mul_lo_u32 v1, s2, v3
	v_mul_lo_u32 v5, s3, v2
	v_mad_u64_u32 v[8:9], null, s2, v2, v[6:7]
	v_mul_hi_u32 v6, 0xf0f0f10, v0
	v_cmp_gt_u64_e32 vcc_lo, s[0:1], v[2:3]
	s_delay_alu instid0(VALU_DEP_3) | instskip(NEXT) | instid1(VALU_DEP_3)
	v_add3_u32 v9, v5, v9, v1
	v_mul_u32_u24_e32 v1, 17, v6
	s_delay_alu instid0(VALU_DEP_2) | instskip(NEXT) | instid1(VALU_DEP_2)
	v_lshlrev_b64 v[2:3], 4, v[8:9]
	v_sub_nc_u32_e32 v236, v0, v1
	scratch_store_b64 off, v[2:3], off offset:36 ; 8-byte Folded Spill
                                        ; implicit-def: $vgpr2_vgpr3
	s_and_saveexec_b32 s1, vcc_lo
	s_cbranch_execz .LBB0_10
; %bb.9:
	scratch_load_b64 v[2:3], off, off offset:36 ; 8-byte Folded Reload
	v_mov_b32_e32 v237, 0
	s_delay_alu instid0(VALU_DEP_1) | instskip(SKIP_2) | instid1(VALU_DEP_1)
	v_lshlrev_b64 v[0:1], 4, v[236:237]
	s_waitcnt vmcnt(0)
	v_add_co_u32 v11, s0, s8, v2
	v_add_co_ci_u32_e64 v12, s0, s9, v3, s0
	v_or_b32_e32 v2, 0x220, v236
	s_delay_alu instid0(VALU_DEP_3) | instskip(SKIP_1) | instid1(VALU_DEP_4)
	v_add_co_u32 v5, s0, v11, v0
	v_mov_b32_e32 v3, v237
	v_add_co_ci_u32_e64 v6, s0, v12, v1, s0
	s_delay_alu instid0(VALU_DEP_3) | instskip(NEXT) | instid1(VALU_DEP_3)
	v_add_co_u32 v7, s0, 0x1000, v5
	v_lshlrev_b64 v[0:1], 4, v[2:3]
	s_delay_alu instid0(VALU_DEP_3) | instskip(SKIP_1) | instid1(VALU_DEP_1)
	v_add_co_ci_u32_e64 v8, s0, 0, v6, s0
	v_add_co_u32 v9, s0, 0x2000, v5
	v_add_co_ci_u32_e64 v10, s0, 0, v6, s0
	s_delay_alu instid0(VALU_DEP_4) | instskip(NEXT) | instid1(VALU_DEP_1)
	v_add_co_u32 v0, s0, v11, v0
	v_add_co_ci_u32_e64 v1, s0, v12, v1, s0
	s_clause 0x1f
	global_load_b128 v[106:109], v[5:6], off
	global_load_b128 v[102:105], v[5:6], off offset:272
	global_load_b128 v[154:157], v[5:6], off offset:2720
	;; [unrolled: 1-line block ×9, first 2 shown]
	global_load_b128 v[114:117], v[0:1], off
	global_load_b128 v[98:101], v[5:6], off offset:544
	global_load_b128 v[0:3], v[5:6], off offset:816
	;; [unrolled: 1-line block ×21, first 2 shown]
	s_clause 0x2
	global_load_b128 v[226:229], v[9:10], off offset:240
	global_load_b128 v[214:217], v[9:10], off offset:784
	global_load_b128 v[206:209], v[9:10], off offset:1056
.LBB0_10:
	s_or_b32 exec_lo, exec_lo, s1
	s_waitcnt vmcnt(1)
	v_add_f64 v[5:6], v[214:215], v[162:163]
	v_add_f64 v[7:8], v[202:203], v[146:147]
	;; [unrolled: 1-line block ×9, first 2 shown]
	v_add_f64 v[23:24], v[148:149], -v[204:205]
	v_add_f64 v[25:26], v[180:181], -v[184:185]
	;; [unrolled: 1-line block ×3, first 2 shown]
	s_waitcnt vmcnt(0)
	v_add_f64 v[29:30], v[206:207], v[158:159]
	v_add_f64 v[31:32], v[194:195], v[170:171]
	v_add_f64 v[33:34], v[156:157], -v[224:225]
	v_add_f64 v[35:36], v[152:153], -v[220:221]
	;; [unrolled: 1-line block ×5, first 2 shown]
	v_add_f64 v[45:46], v[198:199], v[118:119]
	v_add_f64 v[47:48], v[150:151], v[218:219]
	v_add_f64 v[51:52], v[132:133], -v[212:213]
	v_add_f64 v[55:56], v[128:129], -v[136:137]
	v_add_f64 v[57:58], v[126:127], v[134:135]
	v_add_f64 v[59:60], v[140:141], -v[228:229]
	v_add_f64 v[63:64], v[124:125], -v[116:117]
	;; [unrolled: 1-line block ×4, first 2 shown]
	v_add_f64 v[69:70], v[186:187], v[174:175]
	v_add_f64 v[81:82], v[160:161], -v[208:209]
	s_mov_b32 s18, 0x37e14327
	s_mov_b32 s2, 0x36b3c0b5
	;; [unrolled: 1-line block ×9, first 2 shown]
	v_add_f64 v[43:44], v[7:8], v[5:6]
	s_mov_b32 s16, 0xb247c609
	v_add_f64 v[49:50], v[11:12], v[9:10]
	s_mov_b32 s11, 0x3fe77f67
	;; [unrolled: 2-line block ×3, first 2 shown]
	v_add_f64 v[61:62], v[19:20], v[17:18]
	v_add_f64 v[71:72], v[21:22], -v[7:8]
	v_add_f64 v[73:74], v[5:6], -v[21:22]
	v_add_f64 v[75:76], v[25:26], -v[23:24]
	v_add_f64 v[77:78], v[23:24], -v[27:28]
	v_add_f64 v[5:6], v[7:8], -v[5:6]
	v_add_f64 v[79:80], v[31:32], v[29:30]
	v_add_f64 v[7:8], v[25:26], v[23:24]
	v_add_f64 v[23:24], v[35:36], -v[33:34]
	v_add_f64 v[25:26], v[27:28], -v[25:26]
	;; [unrolled: 1-line block ×7, first 2 shown]
	v_add_f64 v[33:34], v[35:36], v[33:34]
	v_add_f64 v[93:94], v[55:56], -v[51:52]
	v_add_f64 v[95:96], v[17:18], -v[57:58]
	;; [unrolled: 1-line block ×8, first 2 shown]
	s_mov_b32 s17, 0x3fd5d0dc
	s_mov_b32 s15, 0xbfd5d0dc
	;; [unrolled: 1-line block ×8, first 2 shown]
	v_add_f64 v[21:22], v[21:22], v[43:44]
	v_add_f64 v[43:44], v[41:42], v[37:38]
	;; [unrolled: 1-line block ×3, first 2 shown]
	v_add_f64 v[37:38], v[37:38], -v[63:64]
	v_add_f64 v[47:48], v[47:48], v[53:54]
	v_add_f64 v[53:54], v[55:56], v[51:52]
	;; [unrolled: 1-line block ×3, first 2 shown]
	v_add_f64 v[51:52], v[51:52], -v[59:60]
	v_add_f64 v[57:58], v[57:58], -v[19:20]
	;; [unrolled: 1-line block ×3, first 2 shown]
	v_mul_f64 v[239:240], v[71:72], s[2:3]
	v_mul_f64 v[73:74], v[73:74], s[18:19]
	;; [unrolled: 1-line block ×4, first 2 shown]
	v_add_f64 v[15:16], v[69:70], v[79:80]
	v_add_f64 v[79:80], v[65:66], -v[81:82]
	v_add_f64 v[69:70], v[29:30], -v[69:70]
	;; [unrolled: 1-line block ×4, first 2 shown]
	v_add_f64 v[19:20], v[67:68], v[65:66]
	v_mul_f64 v[23:24], v[23:24], s[20:21]
	v_add_f64 v[7:8], v[7:8], v[27:28]
	v_mul_f64 v[27:28], v[83:84], s[6:7]
	v_mul_f64 v[31:32], v[85:86], s[20:21]
	v_add_f64 v[29:30], v[81:82], -v[67:68]
	v_add_f64 v[33:34], v[33:34], v[39:40]
	v_mul_f64 v[85:86], v[91:92], s[2:3]
	v_add_f64 v[55:56], v[59:60], -v[55:56]
	v_cmp_eq_u32_e64 s0, 0, v236
                                        ; implicit-def: $vgpr245_vgpr246
	v_add_f64 v[65:66], v[0:1], v[21:22]
	v_add_f64 v[0:1], v[43:44], v[63:64]
	v_mul_f64 v[43:44], v[87:88], s[18:19]
	v_add_f64 v[67:68], v[98:99], v[49:50]
	v_mul_f64 v[63:64], v[89:90], s[18:19]
	v_add_f64 v[39:40], v[106:107], v[47:48]
	v_add_f64 v[53:54], v[53:54], v[59:60]
	v_mul_f64 v[59:60], v[93:94], s[20:21]
	v_mul_f64 v[87:88], v[95:96], s[18:19]
	v_add_f64 v[93:94], v[102:103], v[61:62]
	v_mul_f64 v[89:90], v[51:52], s[6:7]
	v_mul_f64 v[95:96], v[57:58], s[2:3]
	;; [unrolled: 1-line block ×6, first 2 shown]
	v_fma_f64 v[239:240], v[5:6], s[10:11], -v[239:240]
	v_fma_f64 v[5:6], v[5:6], s[12:13], -v[73:74]
	;; [unrolled: 1-line block ×4, first 2 shown]
	v_fma_f64 v[71:72], v[71:72], s[2:3], v[73:74]
	v_fma_f64 v[25:26], v[25:26], s[16:17], v[75:76]
	v_add_f64 v[73:74], v[110:111], v[15:16]
	v_mul_f64 v[75:76], v[79:80], s[6:7]
	v_mul_f64 v[69:70], v[69:70], s[18:19]
	v_fma_f64 v[83:84], v[83:84], s[6:7], -v[23:24]
	v_fma_f64 v[23:24], v[35:36], s[16:17], v[23:24]
	v_fma_f64 v[27:28], v[35:36], s[14:15], -v[27:28]
	v_fma_f64 v[35:36], v[41:42], s[16:17], v[31:32]
	v_fma_f64 v[85:86], v[13:14], s[10:11], -v[85:86]
	v_fma_f64 v[31:32], v[37:38], s[6:7], -v[31:32]
	v_add_f64 v[19:20], v[19:20], v[81:82]
	v_mul_hi_u32 v99, 0xaaaaaaab, v4
	v_fma_f64 v[21:22], v[21:22], s[22:23], v[65:66]
	v_fma_f64 v[45:46], v[45:46], s[2:3], v[43:44]
	;; [unrolled: 1-line block ×5, first 2 shown]
	v_fma_f64 v[13:14], v[13:14], s[12:13], -v[63:64]
	v_fma_f64 v[51:52], v[51:52], s[6:7], -v[59:60]
	v_fma_f64 v[59:60], v[55:56], s[16:17], v[59:60]
	v_fma_f64 v[57:58], v[57:58], s[2:3], v[87:88]
	;; [unrolled: 1-line block ×3, first 2 shown]
	v_fma_f64 v[63:64], v[17:18], s[10:11], -v[95:96]
	v_fma_f64 v[55:56], v[55:56], s[14:15], -v[89:90]
	;; [unrolled: 1-line block ×7, first 2 shown]
	v_fma_f64 v[79:80], v[29:30], s[16:17], v[106:107]
	v_fma_f64 v[81:82], v[11:12], s[10:11], -v[234:235]
	v_fma_f64 v[15:16], v[15:16], s[22:23], v[73:74]
	v_fma_f64 v[29:30], v[29:30], s[14:15], -v[75:76]
	v_fma_f64 v[11:12], v[11:12], s[12:13], -v[69:70]
	v_fma_f64 v[69:70], v[237:238], s[2:3], v[69:70]
	v_lshrrev_b32_e32 v75, 1, v99
	v_fma_f64 v[23:24], v[33:34], s[24:25], v[23:24]
	v_fma_f64 v[83:84], v[33:34], s[24:25], v[83:84]
	;; [unrolled: 1-line block ×4, first 2 shown]
	v_lshl_add_u32 v87, v75, 1, v75
	v_fma_f64 v[75:76], v[7:8], s[24:25], v[77:78]
	v_fma_f64 v[77:78], v[7:8], s[24:25], v[241:242]
	;; [unrolled: 1-line block ×4, first 2 shown]
	v_sub_nc_u32_e32 v4, v4, v87
	v_add_f64 v[5:6], v[5:6], v[21:22]
	v_add_f64 v[35:36], v[239:240], v[21:22]
	;; [unrolled: 1-line block ×4, first 2 shown]
	v_mul_u32_u24_e32 v4, 0x253, v4
	v_add_f64 v[33:34], v[91:92], v[47:48]
	v_add_f64 v[13:14], v[13:14], v[47:48]
	;; [unrolled: 1-line block ×3, first 2 shown]
	v_fma_f64 v[59:60], v[53:54], s[24:25], v[59:60]
	v_fma_f64 v[51:52], v[53:54], s[24:25], v[51:52]
	v_add_f64 v[57:58], v[57:58], v[61:62]
	v_add_f64 v[63:64], v[63:64], v[61:62]
	v_fma_f64 v[53:54], v[53:54], s[24:25], v[55:56]
	v_add_f64 v[17:18], v[17:18], v[61:62]
	v_fma_f64 v[0:1], v[0:1], s[24:25], v[37:38]
	v_add_f64 v[37:38], v[41:42], v[49:50]
	v_add_f64 v[9:10], v[9:10], v[49:50]
	v_fma_f64 v[43:44], v[19:20], s[24:25], v[43:44]
	v_fma_f64 v[41:42], v[19:20], s[24:25], v[79:80]
	v_lshlrev_b32_e32 v79, 3, v4
	v_add_f64 v[49:50], v[81:82], v[15:16]
	v_fma_f64 v[19:20], v[19:20], s[24:25], v[29:30]
	v_add_f64 v[11:12], v[11:12], v[15:16]
	v_add_f64 v[15:16], v[69:70], v[15:16]
	v_add_nc_u32_e32 v234, 0, v79
	scratch_store_b32 off, v79, off         ; 4-byte Folded Spill
	v_add_f64 v[29:30], v[77:78], v[5:6]
	v_add_f64 v[55:56], v[35:36], -v[75:76]
	v_add_f64 v[35:36], v[75:76], v[35:36]
	v_add_f64 v[4:5], v[5:6], -v[77:78]
	v_add_f64 v[61:62], v[45:46], -v[25:26]
	;; [unrolled: 1-line block ×3, first 2 shown]
	v_add_f64 v[6:7], v[7:8], v[21:22]
	v_add_f64 v[21:22], v[23:24], v[33:34]
	;; [unrolled: 1-line block ×3, first 2 shown]
	v_add_f64 v[75:76], v[47:48], -v[83:84]
	v_add_f64 v[47:48], v[83:84], v[47:48]
	v_add_f64 v[13:14], v[13:14], -v[27:28]
	v_add_f64 v[27:28], v[59:60], v[57:58]
	;; [unrolled: 2-line block ×3, first 2 shown]
	v_add_f64 v[63:64], v[53:54], v[17:18]
	v_add_f64 v[17:18], v[17:18], -v[53:54]
	v_add_f64 v[23:24], v[33:34], -v[23:24]
	;; [unrolled: 1-line block ×3, first 2 shown]
	v_add_f64 v[25:26], v[25:26], v[45:46]
	v_add_f64 v[45:46], v[0:1], v[37:38]
	v_add_f64 v[53:54], v[9:10], -v[31:32]
	v_add_f64 v[8:9], v[31:32], v[9:10]
	v_add_f64 v[31:32], v[37:38], -v[0:1]
	v_add_f64 v[37:38], v[49:50], -v[43:44]
	v_add_f64 v[43:44], v[43:44], v[49:50]
	v_add_f64 v[49:50], v[19:20], v[11:12]
	;; [unrolled: 1-line block ×3, first 2 shown]
	v_add_f64 v[10:11], v[11:12], -v[19:20]
	v_add_f64 v[237:238], v[15:16], -v[41:42]
	v_lshlrev_b32_e32 v0, 3, v236
	v_mad_u32_u24 v1, v236, 56, v234
	s_delay_alu instid0(VALU_DEP_2) | instskip(NEXT) | instid1(VALU_DEP_2)
	v_add3_u32 v255, 0, v0, v79
	v_add_nc_u32_e32 v15, 0xb48, v1
	v_add_nc_u32_e32 v235, v234, v0
	;; [unrolled: 1-line block ×11, first 2 shown]
	ds_store_2addr_b64 v15, v[35:36], v[4:5] offset1:1
	ds_store_2addr_b64 v16, v[61:62], v[69:70] offset0:116 offset1:235
	ds_store_2addr_b64 v12, v[29:30], v[55:56] offset1:1
	ds_store_2addr_b64 v0, v[65:66], v[6:7] offset1:1
	;; [unrolled: 1-line block ×3, first 2 shown]
	ds_store_2addr_b64 v1, v[71:72], v[75:76] offset0:2 offset1:3
	ds_store_2addr_b64 v1, v[47:48], v[13:14] offset0:4 offset1:5
	;; [unrolled: 1-line block ×9, first 2 shown]
	ds_store_b64 v1, v[73:74] offset:3808
	ds_store_2addr_b64 v19, v[57:58], v[49:50] offset1:1
	ds_store_2addr_b64 v20, v[37:38], v[43:44] offset1:1
	;; [unrolled: 1-line block ×3, first 2 shown]
	s_waitcnt lgkmcnt(0)
	s_waitcnt_vscnt null, 0x0
	s_barrier
	buffer_gl0_inv
	ds_load_2addr_b64 v[4:7], v255 offset0:17 offset1:35
	ds_load_b64 v[239:240], v235
	ds_load_b64 v[243:244], v255 offset:4616
	ds_load_2addr_b64 v[96:99], v255 offset0:52 offset1:70
	ds_load_2addr_b64 v[92:95], v255 offset0:87 offset1:105
	;; [unrolled: 1-line block ×15, first 2 shown]
	v_add_nc_u32_e32 v111, 0x3b8, v1
	v_add_nc_u32_e32 v110, 0x770, v1
	;; [unrolled: 1-line block ×3, first 2 shown]
                                        ; implicit-def: $vgpr10_vgpr11
                                        ; implicit-def: $vgpr14_vgpr15
                                        ; implicit-def: $vgpr18_vgpr19
                                        ; implicit-def: $vgpr22_vgpr23
                                        ; implicit-def: $vgpr26_vgpr27
                                        ; implicit-def: $vgpr30_vgpr31
                                        ; implicit-def: $vgpr42_vgpr43
                                        ; implicit-def: $vgpr38_vgpr39
	s_and_saveexec_b32 s1, s0
	s_cbranch_execz .LBB0_12
; %bb.11:
	ds_load_2addr_b64 v[36:39], v234 offset0:34 offset1:69
	v_add_nc_u32_e32 v8, 0x400, v234
	v_add_nc_u32_e32 v9, 0x800, v234
	;; [unrolled: 1-line block ×3, first 2 shown]
	ds_load_2addr_b64 v[40:43], v234 offset0:104 offset1:139
	ds_load_2addr_b64 v[28:31], v234 offset0:174 offset1:209
	s_waitcnt lgkmcnt(2)
	v_dual_mov_b32 v238, v37 :: v_dual_mov_b32 v237, v36
	ds_load_2addr_b64 v[24:27], v8 offset0:116 offset1:151
	ds_load_2addr_b64 v[20:23], v9 offset0:58 offset1:93
	;; [unrolled: 1-line block ×5, first 2 shown]
	ds_load_b64 v[245:246], v234 offset:4752
.LBB0_12:
	s_or_b32 exec_lo, exec_lo, s1
	v_add_f64 v[36:37], v[232:233], v[168:169]
	v_add_f64 v[156:157], v[224:225], v[156:157]
	;; [unrolled: 1-line block ×11, first 2 shown]
	v_add_f64 v[154:155], v[154:155], -v[222:223]
	v_add_f64 v[150:151], v[150:151], -v[218:219]
	v_add_f64 v[166:167], v[166:167], -v[230:231]
	v_add_f64 v[128:129], v[128:129], v[136:137]
	v_add_f64 v[130:131], v[130:131], -v[210:211]
	v_add_f64 v[126:127], v[126:127], -v[134:135]
	v_add_f64 v[134:135], v[138:139], -v[226:227]
	v_add_f64 v[120:121], v[200:201], v[120:121]
	;; [unrolled: 4-line block ×3, first 2 shown]
	v_add_f64 v[146:147], v[146:147], -v[202:203]
	v_add_f64 v[172:173], v[178:179], -v[182:183]
	;; [unrolled: 1-line block ×4, first 2 shown]
	v_add_f64 v[176:177], v[188:189], v[176:177]
	v_add_f64 v[174:175], v[186:187], -v[174:175]
	v_add_f64 v[158:159], v[158:159], -v[206:207]
	s_waitcnt lgkmcnt(0)
	s_barrier
	buffer_gl0_inv
                                        ; implicit-def: $vgpr249_vgpr250
	v_add_f64 v[136:137], v[156:157], v[36:37]
	v_add_f64 v[138:139], v[132:133], v[140:141]
	v_add_f64 v[122:123], v[124:125], v[116:117]
	v_add_f64 v[178:179], v[148:149], v[144:145]
	v_add_f64 v[180:181], v[164:165], v[160:161]
	v_add_f64 v[182:183], v[36:37], -v[152:153]
	v_add_f64 v[184:185], v[152:153], -v[156:157]
	;; [unrolled: 1-line block ×9, first 2 shown]
	v_add_f64 v[154:155], v[150:151], v[154:155]
	v_add_f64 v[198:199], v[118:119], -v[142:143]
	v_add_f64 v[200:201], v[142:143], -v[114:115]
	;; [unrolled: 1-line block ×6, first 2 shown]
	v_add_f64 v[142:143], v[118:119], v[142:143]
	v_add_f64 v[146:147], v[172:173], v[146:147]
	v_add_f64 v[206:207], v[174:175], -v[170:171]
	v_add_f64 v[208:209], v[170:171], -v[158:159]
	v_add_f64 v[170:171], v[174:175], v[170:171]
	v_add_f64 v[132:133], v[132:133], -v[140:141]
	v_add_f64 v[116:117], v[124:125], -v[116:117]
	v_add_f64 v[118:119], v[114:115], -v[118:119]
	v_add_f64 v[172:173], v[162:163], -v[172:173]
	v_add_f64 v[174:175], v[158:159], -v[174:175]
	v_add_f64 v[136:137], v[152:153], v[136:137]
	v_add_f64 v[152:153], v[126:127], -v[130:131]
	v_add_f64 v[128:129], v[128:129], v[138:139]
	v_add_f64 v[138:139], v[120:121], -v[124:125]
	;; [unrolled: 2-line block ×4, first 2 shown]
	v_add_f64 v[180:181], v[176:177], v[180:181]
	v_add_f64 v[130:131], v[126:127], v[130:131]
	v_add_f64 v[176:177], v[176:177], -v[164:165]
	v_mul_f64 v[182:183], v[182:183], s[18:19]
	v_mul_f64 v[210:211], v[184:185], s[2:3]
	v_mul_f64 v[140:141], v[186:187], s[20:21]
	v_add_f64 v[126:127], v[134:135], -v[126:127]
	v_mul_f64 v[186:187], v[188:189], s[6:7]
	v_mul_f64 v[190:191], v[190:191], s[18:19]
	v_mul_f64 v[212:213], v[192:193], s[2:3]
	v_mul_f64 v[196:197], v[196:197], s[18:19]
	v_add_f64 v[144:145], v[148:149], -v[144:145]
	v_mul_f64 v[148:149], v[198:199], s[20:21]
	;; [unrolled: 5-line block ×3, first 2 shown]
	v_add_f64 v[154:155], v[154:155], v[166:167]
	v_mul_f64 v[206:207], v[206:207], s[20:21]
	v_mul_f64 v[166:167], v[208:209], s[6:7]
	v_add_f64 v[114:115], v[142:143], v[114:115]
	v_add_f64 v[142:143], v[146:147], v[162:163]
	;; [unrolled: 1-line block ×4, first 2 shown]
	v_mul_f64 v[124:125], v[152:153], s[20:21]
	v_mul_f64 v[152:153], v[194:195], s[6:7]
	v_add_f64 v[104:105], v[104:105], v[128:129]
	v_mul_f64 v[214:215], v[138:139], s[2:3]
	v_add_f64 v[100:101], v[100:101], v[120:121]
	;; [unrolled: 2-line block ×4, first 2 shown]
	v_add_f64 v[130:131], v[130:131], v[134:135]
	v_mul_f64 v[134:135], v[176:177], s[2:3]
	v_fma_f64 v[158:159], v[184:185], s[2:3], v[182:183]
	v_fma_f64 v[162:163], v[36:37], s[10:11], -v[210:211]
	v_fma_f64 v[36:37], v[36:37], s[12:13], -v[182:183]
	v_fma_f64 v[170:171], v[150:151], s[16:17], v[140:141]
	v_fma_f64 v[140:141], v[188:189], s[6:7], -v[140:141]
	v_fma_f64 v[150:151], v[150:151], s[14:15], -v[186:187]
	;; [unrolled: 3-line block ×3, first 2 shown]
	v_fma_f64 v[138:139], v[138:139], s[2:3], v[196:197]
	v_fma_f64 v[188:189], v[118:119], s[16:17], v[148:149]
	v_fma_f64 v[148:149], v[200:201], s[6:7], -v[148:149]
	v_fma_f64 v[118:119], v[118:119], s[14:15], -v[198:199]
	;; [unrolled: 1-line block ×6, first 2 shown]
	v_fma_f64 v[136:137], v[136:137], s[22:23], v[108:109]
	v_fma_f64 v[186:187], v[126:127], s[16:17], v[124:125]
	v_fma_f64 v[124:125], v[194:195], s[6:7], -v[124:125]
	v_fma_f64 v[126:127], v[126:127], s[14:15], -v[152:153]
	v_fma_f64 v[128:129], v[128:129], s[22:23], v[104:105]
	v_fma_f64 v[152:153], v[116:117], s[10:11], -v[214:215]
	v_fma_f64 v[116:117], v[116:117], s[12:13], -v[196:197]
	v_fma_f64 v[120:121], v[120:121], s[22:23], v[100:101]
	v_fma_f64 v[190:191], v[202:203], s[2:3], v[122:123]
	;; [unrolled: 1-line block ×4, first 2 shown]
	v_fma_f64 v[122:123], v[144:145], s[12:13], -v[122:123]
	v_fma_f64 v[144:145], v[176:177], s[2:3], v[178:179]
	v_fma_f64 v[172:173], v[174:175], s[16:17], v[206:207]
	v_fma_f64 v[176:177], v[208:209], s[6:7], -v[206:207]
	v_fma_f64 v[174:175], v[180:181], s[22:23], v[112:113]
	v_fma_f64 v[178:179], v[160:161], s[12:13], -v[178:179]
	v_fma_f64 v[134:135], v[160:161], s[10:11], -v[134:135]
	v_fma_f64 v[160:161], v[154:155], s[24:25], v[170:171]
	v_fma_f64 v[140:141], v[154:155], s[24:25], v[140:141]
	;; [unrolled: 1-line block ×4, first 2 shown]
	v_add_f64 v[154:155], v[158:159], v[136:137]
	v_add_f64 v[36:37], v[36:37], v[136:137]
	;; [unrolled: 1-line block ×3, first 2 shown]
	v_fma_f64 v[158:159], v[130:131], s[24:25], v[186:187]
	v_fma_f64 v[124:125], v[130:131], s[24:25], v[124:125]
	;; [unrolled: 1-line block ×3, first 2 shown]
	v_add_f64 v[130:131], v[182:183], v[128:129]
	v_add_f64 v[132:133], v[132:133], v[128:129]
	;; [unrolled: 1-line block ×3, first 2 shown]
	v_fma_f64 v[162:163], v[114:115], s[24:25], v[188:189]
	v_fma_f64 v[114:115], v[114:115], s[24:25], v[118:119]
	v_add_f64 v[118:119], v[138:139], v[120:121]
	v_add_f64 v[116:117], v[116:117], v[120:121]
	;; [unrolled: 1-line block ×3, first 2 shown]
	v_fma_f64 v[138:139], v[142:143], s[24:25], v[194:195]
	v_fma_f64 v[152:153], v[142:143], s[24:25], v[156:157]
	;; [unrolled: 1-line block ×3, first 2 shown]
	v_add_f64 v[156:157], v[190:191], v[168:169]
	v_add_f64 v[122:123], v[122:123], v[168:169]
	;; [unrolled: 1-line block ×3, first 2 shown]
	v_fma_f64 v[168:169], v[146:147], s[24:25], v[172:173]
	v_fma_f64 v[170:171], v[146:147], s[24:25], v[176:177]
	;; [unrolled: 1-line block ×3, first 2 shown]
	v_add_f64 v[144:145], v[144:145], v[174:175]
	v_add_f64 v[166:167], v[178:179], v[174:175]
	;; [unrolled: 1-line block ×3, first 2 shown]
	v_add_f64 v[172:173], v[154:155], -v[160:161]
	v_add_f64 v[174:175], v[36:37], -v[150:151]
	v_add_f64 v[176:177], v[140:141], v[136:137]
	v_add_f64 v[136:137], v[136:137], -v[140:141]
	v_add_f64 v[36:37], v[150:151], v[36:37]
	v_add_f64 v[140:141], v[160:161], v[154:155]
	v_add_f64 v[150:151], v[130:131], -v[158:159]
	v_add_f64 v[154:155], v[132:133], -v[126:127]
	v_add_f64 v[160:161], v[124:125], v[128:129]
	v_add_f64 v[124:125], v[128:129], -v[124:125]
	v_add_f64 v[126:127], v[126:127], v[132:133]
	v_add_f64 v[130:131], v[158:159], v[130:131]
	v_add_f64 v[132:133], v[118:119], -v[162:163]
	v_add_f64 v[158:159], v[116:117], -v[114:115]
	v_add_f64 v[114:115], v[114:115], v[116:117]
	v_add_f64 v[116:117], v[162:163], v[118:119]
	v_add_f64 v[178:179], v[148:149], v[120:121]
	v_add_f64 v[118:119], v[156:157], -v[138:139]
	v_add_f64 v[138:139], v[138:139], v[156:157]
	v_add_f64 v[120:121], v[120:121], -v[148:149]
	v_add_f64 v[148:149], v[122:123], -v[142:143]
	v_add_f64 v[162:163], v[152:153], v[164:165]
	v_add_f64 v[152:153], v[164:165], -v[152:153]
	v_add_f64 v[128:129], v[168:169], v[144:145]
	v_add_f64 v[156:157], v[166:167], -v[146:147]
	v_add_f64 v[146:147], v[146:147], v[166:167]
	v_add_f64 v[122:123], v[142:143], v[122:123]
	v_add_f64 v[142:143], v[144:145], -v[168:169]
	v_add_f64 v[164:165], v[170:171], v[134:135]
	v_add_f64 v[134:135], v[134:135], -v[170:171]
	ds_store_2addr_b64 v1, v[108:109], v[172:173] offset1:1
	ds_store_2addr_b64 v1, v[174:175], v[176:177] offset0:2 offset1:3
	ds_store_2addr_b64 v1, v[136:137], v[36:37] offset0:4 offset1:5
	ds_store_b64 v1, v[140:141] offset:48
	ds_store_2addr_b64 v111, v[104:105], v[150:151] offset1:1
	ds_store_2addr_b64 v111, v[154:155], v[160:161] offset0:2 offset1:3
	ds_store_2addr_b64 v111, v[124:125], v[126:127] offset0:4 offset1:5
	ds_store_b64 v111, v[130:131] offset:48
	;; [unrolled: 4-line block ×4, first 2 shown]
	ds_store_b64 v107, v[112:113]
	ds_store_2addr_b64 v107, v[142:143], v[156:157] offset0:1 offset1:2
	ds_store_2addr_b64 v107, v[164:165], v[134:135] offset0:3 offset1:4
                                        ; implicit-def: $vgpr110_vgpr111
                                        ; implicit-def: $vgpr114_vgpr115
                                        ; implicit-def: $vgpr118_vgpr119
                                        ; implicit-def: $vgpr122_vgpr123
                                        ; implicit-def: $vgpr134_vgpr135
                                        ; implicit-def: $vgpr130_vgpr131
	scratch_store_b64 off, v[128:129], off offset:312 ; 8-byte Folded Spill
	ds_store_2addr_b64 v107, v[146:147], v[128:129] offset0:5 offset1:6
	s_waitcnt lgkmcnt(0)
	s_waitcnt_vscnt null, 0x0
	s_barrier
	buffer_gl0_inv
	ds_load_2addr_b64 v[0:3], v255 offset0:17 offset1:35
	ds_load_2addr_b64 v[188:191], v255 offset0:52 offset1:70
	;; [unrolled: 1-line block ×16, first 2 shown]
	scratch_store_b32 off, v235, off offset:44 ; 4-byte Folded Spill
	ds_load_b64 v[196:197], v235
	ds_load_b64 v[247:248], v255 offset:4616
                                        ; implicit-def: $vgpr102_vgpr103
                                        ; implicit-def: $vgpr106_vgpr107
	s_and_saveexec_b32 s1, s0
	s_cbranch_execz .LBB0_14
; %bb.13:
	ds_load_2addr_b64 v[128:131], v234 offset0:34 offset1:69
	v_add_nc_u32_e32 v36, 0x400, v234
	v_add_nc_u32_e32 v37, 0x800, v234
	;; [unrolled: 1-line block ×3, first 2 shown]
	ds_load_2addr_b64 v[132:135], v234 offset0:104 offset1:139
	ds_load_2addr_b64 v[120:123], v234 offset0:174 offset1:209
	;; [unrolled: 1-line block ×7, first 2 shown]
	ds_load_b64 v[249:250], v234 offset:4752
	s_waitcnt lgkmcnt(8)
	v_dual_mov_b32 v36, v128 :: v_dual_mov_b32 v37, v129
	scratch_store_b64 off, v[36:37], off offset:312 ; 8-byte Folded Spill
.LBB0_14:
	s_or_b32 exec_lo, exec_lo, s1
	v_and_b32_e32 v36, 0xff, v236
	s_mov_b32 s30, 0x2a9d6da3
	s_mov_b32 s31, 0xbfe58eea
	;; [unrolled: 1-line block ×4, first 2 shown]
	v_mul_lo_u16 v36, v36, 37
	s_mov_b32 s16, 0xeb564b22
	s_mov_b32 s17, 0xbfefdd0d
	;; [unrolled: 1-line block ×4, first 2 shown]
	v_lshrrev_b16 v36, 8, v36
	s_mov_b32 s46, 0x7c9e640b
	s_mov_b32 s47, 0xbfeca52d
	;; [unrolled: 1-line block ×4, first 2 shown]
	v_sub_nc_u16 v37, v236, v36
	s_mov_b32 s14, 0x6c9a05f6
	s_mov_b32 s15, 0xbfe9895b
	;; [unrolled: 1-line block ×4, first 2 shown]
	v_lshrrev_b16 v37, 1, v37
	s_mov_b32 s20, 0xacd6c6b4
	s_mov_b32 s21, 0xbfc7851a
	;; [unrolled: 1-line block ×4, first 2 shown]
	v_and_b32_e32 v37, 0x7f, v37
	s_mov_b32 s18, 0x7faef3
	s_mov_b32 s19, 0xbfef7484
	;; [unrolled: 1-line block ×4, first 2 shown]
	v_add_nc_u16 v36, v37, v36
	s_mov_b32 s45, 0x3feec746
	s_mov_b32 s44, s26
	s_mov_b32 s22, 0xc61f0d01
	s_mov_b32 s28, 0x4363dd80
	v_lshrrev_b16 v36, 2, v36
	s_mov_b32 s23, 0xbfd183b1
	s_mov_b32 s29, 0xbfe0d888
	;; [unrolled: 1-line block ×4, first 2 shown]
	v_mul_lo_u16 v37, v36, 7
	s_mov_b32 s24, 0x910ea3b9
	s_mov_b32 s25, 0xbfeb34fa
	;; [unrolled: 1-line block ×4, first 2 shown]
	v_sub_nc_u16 v37, v236, v37
	s_mov_b32 s42, 0x5d8e7cdc
	s_mov_b32 s43, 0xbfd71e95
	s_mov_b32 s36, 0x370991
	s_mov_b32 s37, 0x3fedd6d0
	v_and_b32_e32 v37, 0xff, v37
	s_mov_b32 s39, 0x3feca52d
	s_mov_b32 s38, s46
	;; [unrolled: 1-line block ×4, first 2 shown]
	v_lshlrev_b32_e32 v232, 8, v37
	s_mov_b32 s51, 0x3fefdd0d
	s_mov_b32 s50, s16
	;; [unrolled: 1-line block ×4, first 2 shown]
	s_clause 0x1
	global_load_b128 v[192:195], v232, s[4:5] offset:16
	global_load_b128 v[251:254], v232, s[4:5]
	s_waitcnt vmcnt(1) lgkmcnt(16)
	v_mul_f64 v[198:199], v[190:191], v[194:195]
	s_delay_alu instid0(VALU_DEP_1) | instskip(SKIP_1) | instid1(VALU_DEP_1)
	v_fma_f64 v[222:223], v[98:99], v[192:193], -v[198:199]
	v_mul_f64 v[98:99], v[98:99], v[194:195]
	v_fma_f64 v[220:221], v[190:191], v[192:193], v[98:99]
	v_add_nc_u32_e32 v190, 17, v236
	s_delay_alu instid0(VALU_DEP_1) | instskip(NEXT) | instid1(VALU_DEP_1)
	v_and_b32_e32 v98, 0xff, v190
	v_mul_lo_u16 v98, v98, 37
	s_delay_alu instid0(VALU_DEP_1) | instskip(NEXT) | instid1(VALU_DEP_1)
	v_lshrrev_b16 v98, 8, v98
	v_sub_nc_u16 v99, v190, v98
	s_delay_alu instid0(VALU_DEP_1) | instskip(NEXT) | instid1(VALU_DEP_1)
	v_lshrrev_b16 v99, 1, v99
	v_and_b32_e32 v99, 0x7f, v99
	s_delay_alu instid0(VALU_DEP_1) | instskip(NEXT) | instid1(VALU_DEP_1)
	v_add_nc_u16 v98, v99, v98
	v_lshrrev_b16 v98, 2, v98
	s_delay_alu instid0(VALU_DEP_1) | instskip(NEXT) | instid1(VALU_DEP_1)
	v_mul_lo_u16 v99, v98, 7
	v_sub_nc_u16 v99, v190, v99
	s_delay_alu instid0(VALU_DEP_1) | instskip(NEXT) | instid1(VALU_DEP_1)
	v_and_b32_e32 v99, 0xff, v99
	v_lshlrev_b32_e32 v234, 8, v99
	s_clause 0x1
	global_load_b128 v[190:193], v234, s[4:5]
	global_load_b128 v[198:201], v234, s[4:5] offset:16
	s_waitcnt vmcnt(1)
	v_mul_f64 v[194:195], v[188:189], v[192:193]
	s_delay_alu instid0(VALU_DEP_1)
	v_fma_f64 v[218:219], v[96:97], v[190:191], -v[194:195]
	v_mul_f64 v[96:97], v[96:97], v[192:193]
	s_clause 0x1
	global_load_b128 v[192:195], v232, s[4:5] offset:32
	global_load_b128 v[202:205], v232, s[4:5] offset:48
	v_fma_f64 v[208:209], v[188:189], v[190:191], v[96:97]
	s_waitcnt vmcnt(1) lgkmcnt(15)
	v_mul_f64 v[96:97], v[186:187], v[194:195]
	s_delay_alu instid0(VALU_DEP_1) | instskip(SKIP_1) | instid1(VALU_DEP_1)
	v_fma_f64 v[224:225], v[94:95], v[192:193], -v[96:97]
	v_mul_f64 v[94:95], v[94:95], v[194:195]
	v_fma_f64 v[216:217], v[186:187], v[192:193], v[94:95]
	v_mul_f64 v[94:95], v[184:185], v[200:201]
	s_delay_alu instid0(VALU_DEP_1) | instskip(SKIP_1) | instid1(VALU_DEP_1)
	v_fma_f64 v[210:211], v[92:93], v[198:199], -v[94:95]
	v_mul_f64 v[92:93], v[92:93], v[200:201]
	v_fma_f64 v[206:207], v[184:185], v[198:199], v[92:93]
	s_waitcnt vmcnt(0) lgkmcnt(14)
	v_mul_f64 v[92:93], v[182:183], v[204:205]
	s_delay_alu instid0(VALU_DEP_1) | instskip(SKIP_1) | instid1(VALU_DEP_1)
	v_fma_f64 v[226:227], v[90:91], v[202:203], -v[92:93]
	v_mul_f64 v[90:91], v[90:91], v[204:205]
	v_fma_f64 v[214:215], v[182:183], v[202:203], v[90:91]
	s_clause 0x1
	global_load_b128 v[90:93], v234, s[4:5] offset:32
	global_load_b128 v[94:97], v234, s[4:5] offset:48
	s_waitcnt vmcnt(1)
	v_mul_f64 v[182:183], v[180:181], v[92:93]
	s_delay_alu instid0(VALU_DEP_1)
	v_fma_f64 v[128:129], v[88:89], v[90:91], -v[182:183]
	v_mul_f64 v[88:89], v[88:89], v[92:93]
	scratch_store_b64 off, v[128:129], off offset:556 ; 8-byte Folded Spill
	v_fma_f64 v[128:129], v[180:181], v[90:91], v[88:89]
	s_clause 0x1
	global_load_b128 v[88:91], v232, s[4:5] offset:64
	global_load_b128 v[198:201], v232, s[4:5] offset:80
	s_waitcnt vmcnt(1) lgkmcnt(13)
	v_mul_f64 v[92:93], v[178:179], v[90:91]
	s_delay_alu instid0(VALU_DEP_1) | instskip(SKIP_1) | instid1(VALU_DEP_1)
	v_fma_f64 v[228:229], v[86:87], v[88:89], -v[92:93]
	v_mul_f64 v[86:87], v[86:87], v[90:91]
	v_fma_f64 v[212:213], v[178:179], v[88:89], v[86:87]
	v_mul_f64 v[86:87], v[176:177], v[96:97]
	s_delay_alu instid0(VALU_DEP_1) | instskip(SKIP_1) | instid1(VALU_DEP_1)
	v_fma_f64 v[192:193], v[84:85], v[94:95], -v[86:87]
	v_mul_f64 v[84:85], v[84:85], v[96:97]
	v_fma_f64 v[190:191], v[176:177], v[94:95], v[84:85]
	s_waitcnt vmcnt(0) lgkmcnt(12)
	v_mul_f64 v[84:85], v[174:175], v[200:201]
	s_delay_alu instid0(VALU_DEP_1) | instskip(SKIP_1) | instid1(VALU_DEP_1)
	v_fma_f64 v[202:203], v[82:83], v[198:199], -v[84:85]
	v_mul_f64 v[82:83], v[82:83], v[200:201]
	v_fma_f64 v[96:97], v[174:175], v[198:199], v[82:83]
	s_clause 0x1
	global_load_b128 v[82:85], v234, s[4:5] offset:64
	global_load_b128 v[86:89], v234, s[4:5] offset:80
	s_waitcnt vmcnt(1)
	v_mul_f64 v[90:91], v[172:173], v[84:85]
	s_delay_alu instid0(VALU_DEP_1) | instskip(SKIP_1) | instid1(VALU_DEP_1)
	v_fma_f64 v[194:195], v[80:81], v[82:83], -v[90:91]
	v_mul_f64 v[80:81], v[80:81], v[84:85]
	v_fma_f64 v[188:189], v[172:173], v[82:83], v[80:81]
	s_clause 0x1
	global_load_b128 v[80:83], v232, s[4:5] offset:96
	global_load_b128 v[90:93], v232, s[4:5] offset:112
	s_waitcnt vmcnt(1) lgkmcnt(11)
	v_mul_f64 v[84:85], v[170:171], v[82:83]
	s_delay_alu instid0(VALU_DEP_1) | instskip(SKIP_1) | instid1(VALU_DEP_1)
	v_fma_f64 v[198:199], v[78:79], v[80:81], -v[84:85]
	v_mul_f64 v[78:79], v[78:79], v[82:83]
	v_fma_f64 v[94:95], v[170:171], v[80:81], v[78:79]
	v_mul_f64 v[78:79], v[168:169], v[88:89]
	s_delay_alu instid0(VALU_DEP_1) | instskip(SKIP_1) | instid1(VALU_DEP_1)
	v_fma_f64 v[184:185], v[76:77], v[86:87], -v[78:79]
	v_mul_f64 v[76:77], v[76:77], v[88:89]
	v_fma_f64 v[174:175], v[168:169], v[86:87], v[76:77]
	s_waitcnt vmcnt(0) lgkmcnt(10)
	v_mul_f64 v[76:77], v[166:167], v[92:93]
	s_delay_alu instid0(VALU_DEP_1) | instskip(SKIP_1) | instid1(VALU_DEP_1)
	v_fma_f64 v[204:205], v[74:75], v[90:91], -v[76:77]
	v_mul_f64 v[74:75], v[74:75], v[92:93]
	v_fma_f64 v[86:87], v[166:167], v[90:91], v[74:75]
	s_clause 0x1
	global_load_b128 v[74:77], v234, s[4:5] offset:96
	global_load_b128 v[78:81], v234, s[4:5] offset:112
	s_waitcnt vmcnt(1)
	v_mul_f64 v[82:83], v[164:165], v[76:77]
	s_delay_alu instid0(VALU_DEP_1) | instskip(SKIP_1) | instid1(VALU_DEP_1)
	v_fma_f64 v[182:183], v[72:73], v[74:75], -v[82:83]
	v_mul_f64 v[72:73], v[72:73], v[76:77]
	v_fma_f64 v[178:179], v[164:165], v[74:75], v[72:73]
	s_clause 0x1
	global_load_b128 v[72:75], v232, s[4:5] offset:128
	global_load_b128 v[82:85], v232, s[4:5] offset:144
	s_waitcnt vmcnt(1) lgkmcnt(9)
	v_mul_f64 v[76:77], v[162:163], v[74:75]
	s_delay_alu instid0(VALU_DEP_1) | instskip(SKIP_1) | instid1(VALU_DEP_1)
	v_fma_f64 v[200:201], v[70:71], v[72:73], -v[76:77]
	v_mul_f64 v[70:71], v[70:71], v[74:75]
	v_fma_f64 v[88:89], v[162:163], v[72:73], v[70:71]
	v_mul_f64 v[70:71], v[160:161], v[80:81]
	s_delay_alu instid0(VALU_DEP_1) | instskip(SKIP_1) | instid1(VALU_DEP_1)
	v_fma_f64 v[172:173], v[68:69], v[78:79], -v[70:71]
	v_mul_f64 v[68:69], v[68:69], v[80:81]
	v_fma_f64 v[166:167], v[160:161], v[78:79], v[68:69]
	s_waitcnt vmcnt(0) lgkmcnt(8)
	v_mul_f64 v[68:69], v[158:159], v[84:85]
	s_delay_alu instid0(VALU_DEP_1) | instskip(SKIP_4) | instid1(VALU_DEP_1)
	v_fma_f64 v[90:91], v[66:67], v[82:83], -v[68:69]
	s_clause 0x1
	global_load_b128 v[68:71], v234, s[4:5] offset:128
	global_load_b128 v[72:75], v234, s[4:5] offset:144
	v_mul_f64 v[66:67], v[66:67], v[84:85]
	v_fma_f64 v[82:83], v[158:159], v[82:83], v[66:67]
	s_waitcnt vmcnt(1)
	v_mul_f64 v[66:67], v[156:157], v[70:71]
	s_delay_alu instid0(VALU_DEP_1) | instskip(SKIP_1) | instid1(VALU_DEP_1)
	v_fma_f64 v[176:177], v[64:65], v[68:69], -v[66:67]
	v_mul_f64 v[64:65], v[64:65], v[70:71]
	v_fma_f64 v[168:169], v[156:157], v[68:69], v[64:65]
	s_clause 0x1
	global_load_b128 v[68:71], v232, s[4:5] offset:160
	global_load_b128 v[76:79], v232, s[4:5] offset:176
	s_waitcnt vmcnt(1) lgkmcnt(7)
	v_mul_f64 v[80:81], v[154:155], v[70:71]
	s_delay_alu instid0(VALU_DEP_1) | instskip(SKIP_1) | instid1(VALU_DEP_1)
	v_fma_f64 v[156:157], v[62:63], v[68:69], -v[80:81]
	v_mul_f64 v[62:63], v[62:63], v[70:71]
	v_fma_f64 v[66:67], v[154:155], v[68:69], v[62:63]
	v_mul_f64 v[62:63], v[152:153], v[74:75]
	s_waitcnt vmcnt(0) lgkmcnt(6)
	v_mul_f64 v[68:69], v[150:151], v[78:79]
	s_delay_alu instid0(VALU_DEP_2) | instskip(SKIP_1) | instid1(VALU_DEP_3)
	v_fma_f64 v[158:159], v[60:61], v[72:73], -v[62:63]
	v_mul_f64 v[60:61], v[60:61], v[74:75]
	v_fma_f64 v[160:161], v[58:59], v[76:77], -v[68:69]
	v_mul_f64 v[58:59], v[58:59], v[78:79]
	s_delay_alu instid0(VALU_DEP_3)
	v_fma_f64 v[154:155], v[152:153], v[72:73], v[60:61]
	s_clause 0x1
	global_load_b128 v[68:71], v234, s[4:5] offset:160
	global_load_b128 v[72:75], v234, s[4:5] offset:176
	v_fma_f64 v[64:65], v[150:151], v[76:77], v[58:59]
	s_waitcnt vmcnt(1)
	v_mul_f64 v[76:77], v[148:149], v[70:71]
	s_delay_alu instid0(VALU_DEP_1) | instskip(SKIP_1) | instid1(VALU_DEP_1)
	v_fma_f64 v[186:187], v[56:57], v[68:69], -v[76:77]
	v_mul_f64 v[56:57], v[56:57], v[70:71]
	v_fma_f64 v[180:181], v[148:149], v[68:69], v[56:57]
	s_clause 0x1
	global_load_b128 v[68:71], v232, s[4:5] offset:192
	global_load_b128 v[76:79], v232, s[4:5] offset:208
	s_waitcnt vmcnt(1) lgkmcnt(5)
	v_mul_f64 v[80:81], v[146:147], v[70:71]
	s_delay_alu instid0(VALU_DEP_1) | instskip(SKIP_1) | instid1(VALU_DEP_1)
	v_fma_f64 v[152:153], v[54:55], v[68:69], -v[80:81]
	v_mul_f64 v[54:55], v[54:55], v[70:71]
	v_fma_f64 v[60:61], v[146:147], v[68:69], v[54:55]
	v_mul_f64 v[68:69], v[144:145], v[74:75]
	s_delay_alu instid0(VALU_DEP_1) | instskip(SKIP_3) | instid1(VALU_DEP_2)
	v_fma_f64 v[148:149], v[52:53], v[72:73], -v[68:69]
	v_mul_f64 v[52:53], v[52:53], v[74:75]
	s_waitcnt vmcnt(0) lgkmcnt(4)
	v_mul_f64 v[68:69], v[142:143], v[78:79]
	v_fma_f64 v[150:151], v[144:145], v[72:73], v[52:53]
	s_delay_alu instid0(VALU_DEP_2) | instskip(SKIP_4) | instid1(VALU_DEP_1)
	v_fma_f64 v[230:231], v[50:51], v[76:77], -v[68:69]
	s_clause 0x1
	global_load_b128 v[68:71], v234, s[4:5] offset:192
	global_load_b128 v[72:75], v234, s[4:5] offset:208
	v_mul_f64 v[50:51], v[50:51], v[78:79]
	v_fma_f64 v[50:51], v[142:143], v[76:77], v[50:51]
	s_waitcnt vmcnt(1)
	v_mul_f64 v[76:77], v[140:141], v[70:71]
	s_delay_alu instid0(VALU_DEP_1) | instskip(SKIP_1) | instid1(VALU_DEP_1)
	v_fma_f64 v[144:145], v[48:49], v[68:69], -v[76:77]
	v_mul_f64 v[48:49], v[48:49], v[70:71]
	v_fma_f64 v[146:147], v[140:141], v[68:69], v[48:49]
	s_clause 0x1
	global_load_b128 v[68:71], v232, s[4:5] offset:224
	global_load_b128 v[76:79], v232, s[4:5] offset:240
	s_waitcnt vmcnt(1) lgkmcnt(3)
	v_mul_f64 v[80:81], v[138:139], v[70:71]
	s_delay_alu instid0(VALU_DEP_1) | instskip(SKIP_1) | instid1(VALU_DEP_1)
	v_fma_f64 v[232:233], v[46:47], v[68:69], -v[80:81]
	v_mul_f64 v[46:47], v[46:47], v[70:71]
	v_fma_f64 v[46:47], v[138:139], v[68:69], v[46:47]
	v_mul_f64 v[68:69], v[136:137], v[74:75]
	s_delay_alu instid0(VALU_DEP_1) | instskip(SKIP_3) | instid1(VALU_DEP_2)
	v_fma_f64 v[57:58], v[44:45], v[72:73], -v[68:69]
	v_mul_f64 v[44:45], v[44:45], v[74:75]
	s_waitcnt vmcnt(0) lgkmcnt(2)
	v_mul_f64 v[68:69], v[126:127], v[78:79]
	v_fma_f64 v[62:63], v[136:137], v[72:73], v[44:45]
	s_delay_alu instid0(VALU_DEP_2) | instskip(SKIP_4) | instid1(VALU_DEP_1)
	v_fma_f64 v[241:242], v[34:35], v[76:77], -v[68:69]
	s_clause 0x1
	global_load_b128 v[68:71], v234, s[4:5] offset:224
	global_load_b128 v[72:75], v234, s[4:5] offset:240
	v_mul_f64 v[34:35], v[34:35], v[78:79]
	v_fma_f64 v[44:45], v[126:127], v[76:77], v[34:35]
	v_add_nc_u32_e32 v34, 34, v236
	s_waitcnt vmcnt(1)
	v_mul_f64 v[76:77], v[124:125], v[70:71]
	s_delay_alu instid0(VALU_DEP_1) | instskip(SKIP_1) | instid1(VALU_DEP_1)
	v_fma_f64 v[170:171], v[32:33], v[68:69], -v[76:77]
	v_mul_f64 v[32:33], v[32:33], v[70:71]
	v_fma_f64 v[55:56], v[124:125], v[68:69], v[32:33]
	v_and_b32_e32 v32, 0xff, v34
	s_delay_alu instid0(VALU_DEP_1) | instskip(NEXT) | instid1(VALU_DEP_1)
	v_mul_lo_u16 v32, v32, 37
	v_lshrrev_b16 v32, 8, v32
	s_delay_alu instid0(VALU_DEP_1) | instskip(NEXT) | instid1(VALU_DEP_1)
	v_sub_nc_u16 v33, v34, v32
	v_lshrrev_b16 v33, 1, v33
	s_delay_alu instid0(VALU_DEP_1) | instskip(NEXT) | instid1(VALU_DEP_1)
	v_and_b32_e32 v33, 0x7f, v33
	v_add_nc_u16 v32, v33, v32
	s_delay_alu instid0(VALU_DEP_1) | instskip(NEXT) | instid1(VALU_DEP_1)
	v_lshrrev_b16 v32, 2, v32
	v_mul_lo_u16 v32, v32, 7
	s_delay_alu instid0(VALU_DEP_1) | instskip(NEXT) | instid1(VALU_DEP_1)
	v_sub_nc_u16 v32, v34, v32
	v_and_b32_e32 v127, 0xff, v32
	s_delay_alu instid0(VALU_DEP_1)
	v_lshlrev_b32_e32 v32, 8, v127
	s_clause 0x1
	global_load_b128 v[68:71], v32, s[4:5]
	global_load_b128 v[76:79], v32, s[4:5] offset:16
	s_waitcnt vmcnt(1)
	v_mul_f64 v[80:81], v[130:131], v[70:71]
	s_delay_alu instid0(VALU_DEP_1)
	v_fma_f64 v[33:34], v[38:39], v[68:69], -v[80:81]
	v_mul_f64 v[38:39], v[38:39], v[70:71]
	scratch_store_b64 off, v[33:34], off offset:280 ; 8-byte Folded Spill
	v_fma_f64 v[33:34], v[130:131], v[68:69], v[38:39]
	s_waitcnt vmcnt(0)
	v_mul_f64 v[38:39], v[132:133], v[78:79]
	scratch_store_b64 off, v[33:34], off offset:288 ; 8-byte Folded Spill
	v_fma_f64 v[33:34], v[40:41], v[76:77], -v[38:39]
	v_mul_f64 v[38:39], v[40:41], v[78:79]
	scratch_store_b64 off, v[33:34], off offset:248 ; 8-byte Folded Spill
	v_fma_f64 v[33:34], v[132:133], v[76:77], v[38:39]
	scratch_store_b64 off, v[33:34], off offset:256 ; 8-byte Folded Spill
	s_clause 0x1
	global_load_b128 v[38:41], v32, s[4:5] offset:32
	global_load_b128 v[68:71], v32, s[4:5] offset:48
	s_waitcnt vmcnt(1)
	v_mul_f64 v[76:77], v[134:135], v[40:41]
	v_mul_f64 v[40:41], v[42:43], v[40:41]
	s_delay_alu instid0(VALU_DEP_2)
	v_fma_f64 v[33:34], v[42:43], v[38:39], -v[76:77]
	scratch_store_b64 off, v[33:34], off offset:224 ; 8-byte Folded Spill
	v_fma_f64 v[33:34], v[134:135], v[38:39], v[40:41]
	s_waitcnt vmcnt(0)
	v_mul_f64 v[38:39], v[120:121], v[70:71]
	v_add_f64 v[134:135], v[212:213], -v[64:65]
	scratch_store_b64 off, v[33:34], off offset:240 ; 8-byte Folded Spill
	v_fma_f64 v[33:34], v[28:29], v[68:69], -v[38:39]
	v_mul_f64 v[28:29], v[28:29], v[70:71]
	s_delay_alu instid0(VALU_DEP_1)
	v_fma_f64 v[28:29], v[120:121], v[68:69], v[28:29]
	s_clause 0x1
	scratch_store_b64 off, v[33:34], off offset:208
	scratch_store_b64 off, v[28:29], off offset:216
	s_clause 0x1
	global_load_b128 v[38:41], v32, s[4:5] offset:64
	global_load_b128 v[68:71], v32, s[4:5] offset:80
	s_waitcnt vmcnt(1)
	v_mul_f64 v[28:29], v[122:123], v[40:41]
	s_delay_alu instid0(VALU_DEP_1) | instskip(SKIP_2) | instid1(VALU_DEP_1)
	v_fma_f64 v[28:29], v[30:31], v[38:39], -v[28:29]
	scratch_store_b64 off, v[28:29], off offset:184 ; 8-byte Folded Spill
	v_mul_f64 v[28:29], v[30:31], v[40:41]
	v_fma_f64 v[28:29], v[122:123], v[38:39], v[28:29]
	scratch_store_b64 off, v[28:29], off offset:192 ; 8-byte Folded Spill
	s_waitcnt vmcnt(0)
	v_mul_f64 v[28:29], v[116:117], v[70:71]
	s_delay_alu instid0(VALU_DEP_1) | instskip(SKIP_1) | instid1(VALU_DEP_1)
	v_fma_f64 v[28:29], v[24:25], v[68:69], -v[28:29]
	v_mul_f64 v[24:25], v[24:25], v[70:71]
	v_fma_f64 v[24:25], v[116:117], v[68:69], v[24:25]
	s_clause 0x1
	scratch_store_b64 off, v[28:29], off offset:160
	scratch_store_b64 off, v[24:25], off offset:168
	s_clause 0x1
	global_load_b128 v[28:31], v32, s[4:5] offset:96
	global_load_b128 v[38:41], v32, s[4:5] offset:112
	s_waitcnt vmcnt(1)
	v_mul_f64 v[24:25], v[118:119], v[30:31]
	s_delay_alu instid0(VALU_DEP_1) | instskip(SKIP_2) | instid1(VALU_DEP_1)
	v_fma_f64 v[24:25], v[26:27], v[28:29], -v[24:25]
	scratch_store_b64 off, v[24:25], off offset:144 ; 8-byte Folded Spill
	v_mul_f64 v[24:25], v[26:27], v[30:31]
	v_fma_f64 v[24:25], v[118:119], v[28:29], v[24:25]
	v_add_f64 v[118:119], v[228:229], v[160:161]
	scratch_store_b64 off, v[24:25], off offset:120 ; 8-byte Folded Spill
	s_waitcnt vmcnt(0)
	v_mul_f64 v[24:25], v[112:113], v[40:41]
	s_delay_alu instid0(VALU_DEP_1) | instskip(SKIP_1) | instid1(VALU_DEP_1)
	v_fma_f64 v[24:25], v[20:21], v[38:39], -v[24:25]
	v_mul_f64 v[20:21], v[20:21], v[40:41]
	v_fma_f64 v[20:21], v[112:113], v[38:39], v[20:21]
	scratch_store_b64 off, v[24:25], off offset:128 ; 8-byte Folded Spill
	v_add_f64 v[112:113], v[214:215], -v[60:61]
	scratch_store_b64 off, v[20:21], off offset:112 ; 8-byte Folded Spill
	s_clause 0x1
	global_load_b128 v[24:27], v32, s[4:5] offset:128
	global_load_b128 v[28:31], v32, s[4:5] offset:144
	v_mul_f64 v[116:117], v[112:113], s[44:45]
	s_waitcnt vmcnt(1)
	v_mul_f64 v[20:21], v[114:115], v[26:27]
	s_delay_alu instid0(VALU_DEP_1) | instskip(SKIP_2) | instid1(VALU_DEP_1)
	v_fma_f64 v[20:21], v[22:23], v[24:25], -v[20:21]
	scratch_store_b64 off, v[20:21], off offset:136 ; 8-byte Folded Spill
	v_mul_f64 v[20:21], v[22:23], v[26:27]
	v_fma_f64 v[20:21], v[114:115], v[24:25], v[20:21]
	v_mul_f64 v[114:115], v[112:113], s[20:21]
	scratch_store_b64 off, v[20:21], off offset:104 ; 8-byte Folded Spill
	s_waitcnt vmcnt(0)
	v_mul_f64 v[20:21], v[108:109], v[30:31]
	s_delay_alu instid0(VALU_DEP_1) | instskip(SKIP_1) | instid1(VALU_DEP_1)
	v_fma_f64 v[20:21], v[16:17], v[28:29], -v[20:21]
	v_mul_f64 v[16:17], v[16:17], v[30:31]
	v_fma_f64 v[16:17], v[108:109], v[28:29], v[16:17]
	s_clause 0x1
	scratch_store_b64 off, v[20:21], off offset:152
	scratch_store_b64 off, v[16:17], off offset:96
	s_clause 0x1
	global_load_b128 v[20:23], v32, s[4:5] offset:160
	global_load_b128 v[24:27], v32, s[4:5] offset:176
	s_waitcnt vmcnt(1)
	v_mul_f64 v[16:17], v[110:111], v[22:23]
	s_delay_alu instid0(VALU_DEP_1) | instskip(SKIP_2) | instid1(VALU_DEP_1)
	v_fma_f64 v[16:17], v[18:19], v[20:21], -v[16:17]
	scratch_store_b64 off, v[16:17], off offset:176 ; 8-byte Folded Spill
	v_mul_f64 v[16:17], v[18:19], v[22:23]
	v_fma_f64 v[16:17], v[110:111], v[20:21], v[16:17]
	scratch_store_b64 off, v[16:17], off offset:88 ; 8-byte Folded Spill
	s_waitcnt vmcnt(0)
	v_mul_f64 v[16:17], v[104:105], v[26:27]
	s_delay_alu instid0(VALU_DEP_1) | instskip(SKIP_1) | instid1(VALU_DEP_1)
	v_fma_f64 v[16:17], v[12:13], v[24:25], -v[16:17]
	v_mul_f64 v[12:13], v[12:13], v[26:27]
	v_fma_f64 v[12:13], v[104:105], v[24:25], v[12:13]
	s_clause 0x1
	scratch_store_b64 off, v[16:17], off offset:200
	scratch_store_b64 off, v[12:13], off offset:80
	s_clause 0x1
	global_load_b128 v[16:19], v32, s[4:5] offset:192
	global_load_b128 v[20:23], v32, s[4:5] offset:208
	s_waitcnt vmcnt(1)
	v_mul_f64 v[12:13], v[106:107], v[18:19]
	s_delay_alu instid0(VALU_DEP_1) | instskip(SKIP_2) | instid1(VALU_DEP_1)
	v_fma_f64 v[12:13], v[14:15], v[16:17], -v[12:13]
	scratch_store_b64 off, v[12:13], off offset:232 ; 8-byte Folded Spill
	v_mul_f64 v[12:13], v[14:15], v[18:19]
	v_fma_f64 v[12:13], v[106:107], v[16:17], v[12:13]
	scratch_store_b64 off, v[12:13], off offset:72 ; 8-byte Folded Spill
	s_waitcnt vmcnt(0) lgkmcnt(1)
	v_mul_f64 v[12:13], v[100:101], v[22:23]
	s_delay_alu instid0(VALU_DEP_1) | instskip(SKIP_1) | instid1(VALU_DEP_1)
	v_fma_f64 v[12:13], v[8:9], v[20:21], -v[12:13]
	v_mul_f64 v[8:9], v[8:9], v[22:23]
	v_fma_f64 v[8:9], v[100:101], v[20:21], v[8:9]
	scratch_store_b64 off, v[12:13], off offset:264 ; 8-byte Folded Spill
	v_add_f64 v[20:21], v[220:221], -v[46:47]
	scratch_store_b64 off, v[8:9], off offset:64 ; 8-byte Folded Spill
	s_clause 0x1
	global_load_b128 v[12:15], v32, s[4:5] offset:224
	global_load_b128 v[16:19], v32, s[4:5] offset:240
	v_mul_f64 v[22:23], v[20:21], s[16:17]
	v_mul_f64 v[142:143], v[20:21], s[38:39]
	scratch_store_b64 off, v[44:45], off offset:28 ; 8-byte Folded Spill
	s_waitcnt vmcnt(1)
	v_mul_f64 v[8:9], v[102:103], v[14:15]
	s_delay_alu instid0(VALU_DEP_1) | instskip(SKIP_2) | instid1(VALU_DEP_1)
	v_fma_f64 v[8:9], v[10:11], v[12:13], -v[8:9]
	scratch_store_b64 off, v[8:9], off offset:272 ; 8-byte Folded Spill
	v_mul_f64 v[8:9], v[10:11], v[14:15]
	v_fma_f64 v[8:9], v[102:103], v[12:13], v[8:9]
	s_waitcnt vmcnt(0) lgkmcnt(0)
	v_mul_f64 v[12:13], v[249:250], v[18:19]
	scratch_store_b64 off, v[8:9], off offset:56 ; 8-byte Folded Spill
	v_mul_f64 v[8:9], v[247:248], v[74:75]
	s_delay_alu instid0(VALU_DEP_1) | instskip(SKIP_3) | instid1(VALU_DEP_2)
	v_fma_f64 v[8:9], v[243:244], v[72:73], -v[8:9]
	scratch_store_b64 off, v[8:9], off offset:564 ; 8-byte Folded Spill
	v_mul_f64 v[8:9], v[243:244], v[74:75]
	v_mul_f64 v[243:244], v[134:135], s[52:53]
	v_fma_f64 v[10:11], v[247:248], v[72:73], v[8:9]
	v_fma_f64 v[8:9], v[245:246], v[16:17], -v[12:13]
	v_mul_f64 v[12:13], v[245:246], v[18:19]
	v_mul_f64 v[245:246], v[134:135], s[34:35]
	v_add_f64 v[247:248], v[202:203], v[156:157]
	scratch_store_b64 off, v[8:9], off offset:296 ; 8-byte Folded Spill
	v_fma_f64 v[8:9], v[249:250], v[16:17], v[12:13]
	v_mul_f64 v[12:13], v[6:7], v[253:254]
	v_add_f64 v[249:250], v[96:97], -v[66:67]
	scratch_store_b64 off, v[8:9], off offset:48 ; 8-byte Folded Spill
	v_fma_f64 v[12:13], v[2:3], v[251:252], v[12:13]
	v_mul_f64 v[2:3], v[2:3], v[253:254]
	s_clause 0x3
	scratch_store_b64 off, v[46:47], off offset:4
	scratch_store_b64 off, v[220:221], off offset:548
	;; [unrolled: 1-line block ×4, first 2 shown]
	v_mul_f64 v[253:254], v[249:250], s[42:43]
	s_clause 0x9
	scratch_store_b64 off, v[60:61], off offset:20
	scratch_store_b64 off, v[214:215], off offset:532
	;; [unrolled: 1-line block ×10, first 2 shown]
	scratch_load_b32 v54, off, off          ; 4-byte Folded Reload
	v_and_b32_e32 v8, 0xffff, v36
	s_waitcnt vmcnt(0)
	s_waitcnt_vscnt null, 0x0
	s_barrier
	buffer_gl0_inv
	scratch_store_b64 off, v[198:199], off offset:508 ; 8-byte Folded Spill
	v_mad_u32_u24 v8, 0x3b8, v8, 0
	v_add_f64 v[14:15], v[12:13], -v[44:45]
	v_fma_f64 v[2:3], v[6:7], v[251:252], -v[2:3]
	v_mul_f64 v[251:252], v[249:250], s[44:45]
	s_delay_alu instid0(VALU_DEP_3) | instskip(NEXT) | instid1(VALU_DEP_3)
	v_mul_f64 v[16:17], v[14:15], s[30:31]
	v_add_f64 v[6:7], v[2:3], v[241:242]
	s_delay_alu instid0(VALU_DEP_1) | instskip(NEXT) | instid1(VALU_DEP_1)
	v_fma_f64 v[18:19], v[6:7], s[2:3], -v[16:17]
	v_add_f64 v[24:25], v[239:240], v[18:19]
	v_add_f64 v[18:19], v[222:223], v[232:233]
	s_delay_alu instid0(VALU_DEP_1) | instskip(SKIP_1) | instid1(VALU_DEP_2)
	v_fma_f64 v[26:27], v[18:19], s[6:7], -v[22:23]
	v_fma_f64 v[102:103], v[18:19], s[10:11], -v[142:143]
	v_add_f64 v[40:41], v[26:27], v[24:25]
	v_mul_f64 v[24:25], v[14:15], s[46:47]
	s_delay_alu instid0(VALU_DEP_1) | instskip(NEXT) | instid1(VALU_DEP_1)
	v_fma_f64 v[26:27], v[6:7], s[10:11], -v[24:25]
	v_add_f64 v[28:29], v[239:240], v[26:27]
	v_mul_f64 v[26:27], v[20:21], s[14:15]
	s_delay_alu instid0(VALU_DEP_1) | instskip(NEXT) | instid1(VALU_DEP_1)
	v_fma_f64 v[30:31], v[18:19], s[12:13], -v[26:27]
	v_add_f64 v[42:43], v[30:31], v[28:29]
	v_add_f64 v[30:31], v[216:217], -v[50:51]
	v_add_f64 v[28:29], v[224:225], v[230:231]
	v_dual_mov_b32 v216, v226 :: v_dual_mov_b32 v217, v227
	v_dual_mov_b32 v227, v91 :: v_dual_mov_b32 v226, v90
	v_lshlrev_b32_e32 v9, 3, v37
	v_mul_f64 v[36:37], v[14:15], s[16:17]
	v_mul_f64 v[90:91], v[20:21], s[52:53]
	s_delay_alu instid0(VALU_DEP_4) | instskip(NEXT) | instid1(VALU_DEP_4)
	v_add_f64 v[234:235], v[198:199], v[226:227]
	v_add3_u32 v108, v8, v9, v54
	v_mul_f64 v[38:39], v[30:31], s[14:15]
	s_delay_alu instid0(VALU_DEP_4) | instskip(NEXT) | instid1(VALU_DEP_2)
	v_fma_f64 v[92:93], v[18:19], s[24:25], -v[90:91]
	v_fma_f64 v[68:69], v[28:29], s[12:13], -v[38:39]
	s_delay_alu instid0(VALU_DEP_1) | instskip(SKIP_1) | instid1(VALU_DEP_1)
	v_add_f64 v[68:69], v[68:69], v[40:41]
	v_mul_f64 v[40:41], v[30:31], s[48:49]
	v_fma_f64 v[70:71], v[28:29], s[18:19], -v[40:41]
	s_delay_alu instid0(VALU_DEP_1) | instskip(SKIP_1) | instid1(VALU_DEP_1)
	v_add_f64 v[70:71], v[70:71], v[42:43]
	v_add_f64 v[42:43], v[216:217], v[152:153]
	v_fma_f64 v[72:73], v[42:43], s[18:19], -v[114:115]
	s_delay_alu instid0(VALU_DEP_1) | instskip(SKIP_1) | instid1(VALU_DEP_1)
	v_add_f64 v[68:69], v[72:73], v[68:69]
	v_fma_f64 v[72:73], v[42:43], s[22:23], -v[116:117]
	v_add_f64 v[70:71], v[72:73], v[70:71]
	v_fma_f64 v[72:73], v[118:119], s[24:25], -v[243:244]
	s_delay_alu instid0(VALU_DEP_1) | instskip(SKIP_1) | instid1(VALU_DEP_1)
	v_add_f64 v[68:69], v[72:73], v[68:69]
	v_fma_f64 v[72:73], v[118:119], s[2:3], -v[245:246]
	v_add_f64 v[70:71], v[72:73], v[70:71]
	v_fma_f64 v[72:73], v[247:248], s[22:23], -v[251:252]
	s_delay_alu instid0(VALU_DEP_1) | instskip(SKIP_1) | instid1(VALU_DEP_1)
	v_add_f64 v[72:73], v[72:73], v[68:69]
	v_fma_f64 v[68:69], v[247:248], s[36:37], -v[253:254]
	v_add_f64 v[74:75], v[68:69], v[70:71]
	v_add_f64 v[68:69], v[94:95], -v[82:83]
	s_delay_alu instid0(VALU_DEP_1) | instskip(NEXT) | instid1(VALU_DEP_1)
	v_mul_f64 v[70:71], v[68:69], s[38:39]
	v_fma_f64 v[76:77], v[234:235], s[10:11], -v[70:71]
	s_delay_alu instid0(VALU_DEP_1) | instskip(SKIP_1) | instid1(VALU_DEP_1)
	v_add_f64 v[80:81], v[76:77], v[72:73]
	v_mul_f64 v[72:73], v[68:69], s[16:17]
	v_fma_f64 v[76:77], v[234:235], s[6:7], -v[72:73]
	s_delay_alu instid0(VALU_DEP_1) | instskip(SKIP_2) | instid1(VALU_DEP_2)
	v_add_f64 v[84:85], v[76:77], v[74:75]
	v_add_f64 v[76:77], v[86:87], -v[88:89]
	v_add_f64 v[74:75], v[204:205], v[200:201]
	v_mul_f64 v[78:79], v[76:77], s[40:41]
	s_delay_alu instid0(VALU_DEP_1) | instskip(NEXT) | instid1(VALU_DEP_1)
	v_fma_f64 v[82:83], v[74:75], s[36:37], -v[78:79]
	v_add_f64 v[82:83], v[82:83], v[80:81]
	v_mul_f64 v[80:81], v[76:77], s[28:29]
	s_delay_alu instid0(VALU_DEP_1) | instskip(NEXT) | instid1(VALU_DEP_1)
	v_fma_f64 v[86:87], v[74:75], s[24:25], -v[80:81]
	v_add_f64 v[84:85], v[86:87], v[84:85]
	ds_store_2addr_b64 v108, v[82:83], v[84:85] offset0:14 offset1:21
	v_fma_f64 v[82:83], v[6:7], s[6:7], -v[36:37]
	v_mul_f64 v[84:85], v[20:21], s[20:21]
	s_delay_alu instid0(VALU_DEP_2) | instskip(NEXT) | instid1(VALU_DEP_2)
	v_add_f64 v[82:83], v[239:240], v[82:83]
	v_fma_f64 v[86:87], v[18:19], s[18:19], -v[84:85]
	s_delay_alu instid0(VALU_DEP_1) | instskip(SKIP_1) | instid1(VALU_DEP_1)
	v_add_f64 v[82:83], v[86:87], v[82:83]
	v_mul_f64 v[86:87], v[14:15], s[26:27]
	v_fma_f64 v[88:89], v[6:7], s[22:23], -v[86:87]
	s_delay_alu instid0(VALU_DEP_1) | instskip(NEXT) | instid1(VALU_DEP_1)
	v_add_f64 v[88:89], v[239:240], v[88:89]
	v_add_f64 v[88:89], v[92:93], v[88:89]
	v_mul_f64 v[92:93], v[30:31], s[44:45]
	s_delay_alu instid0(VALU_DEP_1) | instskip(NEXT) | instid1(VALU_DEP_1)
	v_fma_f64 v[94:95], v[28:29], s[22:23], -v[92:93]
	v_add_f64 v[82:83], v[94:95], v[82:83]
	v_mul_f64 v[94:95], v[30:31], s[34:35]
	s_delay_alu instid0(VALU_DEP_1) | instskip(NEXT) | instid1(VALU_DEP_1)
	v_fma_f64 v[96:97], v[28:29], s[2:3], -v[94:95]
	;; [unrolled: 4-line block ×12, first 2 shown]
	v_add_f64 v[88:89], v[106:107], v[88:89]
	v_mul_f64 v[106:107], v[20:21], s[44:45]
	ds_store_2addr_b64 v108, v[82:83], v[88:89] offset0:28 offset1:35
	v_mul_f64 v[82:83], v[14:15], s[14:15]
	v_fma_f64 v[100:101], v[18:19], s[22:23], -v[106:107]
	s_delay_alu instid0(VALU_DEP_2) | instskip(NEXT) | instid1(VALU_DEP_1)
	v_fma_f64 v[88:89], v[6:7], s[12:13], -v[82:83]
	v_add_f64 v[88:89], v[239:240], v[88:89]
	s_delay_alu instid0(VALU_DEP_1) | instskip(SKIP_1) | instid1(VALU_DEP_1)
	v_add_f64 v[88:89], v[100:101], v[88:89]
	v_mul_f64 v[100:101], v[14:15], s[28:29]
	v_fma_f64 v[140:141], v[6:7], s[24:25], -v[100:101]
	s_delay_alu instid0(VALU_DEP_1) | instskip(NEXT) | instid1(VALU_DEP_1)
	v_add_f64 v[140:141], v[239:240], v[140:141]
	v_add_f64 v[102:103], v[102:103], v[140:141]
	v_mul_f64 v[140:141], v[30:31], s[42:43]
	s_delay_alu instid0(VALU_DEP_1) | instskip(NEXT) | instid1(VALU_DEP_1)
	v_fma_f64 v[8:9], v[28:29], s[36:37], -v[140:141]
	v_add_f64 v[8:9], v[8:9], v[88:89]
	v_mul_f64 v[88:89], v[30:31], s[16:17]
	s_delay_alu instid0(VALU_DEP_1) | instskip(NEXT) | instid1(VALU_DEP_1)
	v_fma_f64 v[34:35], v[28:29], s[6:7], -v[88:89]
	v_add_f64 v[34:35], v[34:35], v[102:103]
	v_mul_f64 v[102:103], v[112:113], s[28:29]
	s_delay_alu instid0(VALU_DEP_1) | instskip(NEXT) | instid1(VALU_DEP_1)
	v_fma_f64 v[64:65], v[42:43], s[24:25], -v[102:103]
	v_add_f64 v[8:9], v[64:65], v[8:9]
	v_mul_f64 v[64:65], v[112:113], s[54:55]
	s_delay_alu instid0(VALU_DEP_1) | instskip(NEXT) | instid1(VALU_DEP_1)
	v_fma_f64 v[162:163], v[42:43], s[12:13], -v[64:65]
	v_add_f64 v[34:35], v[162:163], v[34:35]
	v_mul_f64 v[162:163], v[134:135], s[50:51]
	s_delay_alu instid0(VALU_DEP_1) | instskip(NEXT) | instid1(VALU_DEP_1)
	v_fma_f64 v[66:67], v[118:119], s[6:7], -v[162:163]
	v_add_f64 v[8:9], v[66:67], v[8:9]
	v_mul_f64 v[66:67], v[134:135], s[42:43]
	s_delay_alu instid0(VALU_DEP_1) | instskip(NEXT) | instid1(VALU_DEP_1)
	v_fma_f64 v[32:33], v[118:119], s[36:37], -v[66:67]
	v_add_f64 v[32:33], v[32:33], v[34:35]
	v_mul_f64 v[34:35], v[249:250], s[30:31]
	s_delay_alu instid0(VALU_DEP_1) | instskip(SKIP_1) | instid1(VALU_DEP_2)
	v_fma_f64 v[44:45], v[247:248], s[2:3], -v[34:35]
	v_fma_f64 v[34:35], v[247:248], s[2:3], v[34:35]
	v_add_f64 v[8:9], v[44:45], v[8:9]
	v_mul_f64 v[44:45], v[249:250], s[20:21]
	s_delay_alu instid0(VALU_DEP_1) | instskip(NEXT) | instid1(VALU_DEP_1)
	v_fma_f64 v[164:165], v[247:248], s[18:19], -v[44:45]
	v_add_f64 v[32:33], v[164:165], v[32:33]
	v_mul_f64 v[164:165], v[68:69], s[20:21]
	s_delay_alu instid0(VALU_DEP_1) | instskip(NEXT) | instid1(VALU_DEP_1)
	v_fma_f64 v[60:61], v[234:235], s[18:19], -v[164:165]
	;; [unrolled: 4-line block ×5, first 2 shown]
	v_add_f64 v[32:33], v[52:53], v[32:33]
	v_mul_f64 v[52:53], v[20:21], s[40:41]
	ds_store_2addr_b64 v108, v[8:9], v[32:33] offset0:42 offset1:49
	v_mul_f64 v[8:9], v[14:15], s[20:21]
	v_fma_f64 v[50:51], v[18:19], s[36:37], -v[52:53]
	s_delay_alu instid0(VALU_DEP_2) | instskip(SKIP_1) | instid1(VALU_DEP_2)
	v_fma_f64 v[32:33], v[6:7], s[18:19], -v[8:9]
	v_fma_f64 v[8:9], v[6:7], s[18:19], v[8:9]
	v_add_f64 v[32:33], v[239:240], v[32:33]
	s_delay_alu instid0(VALU_DEP_2) | instskip(NEXT) | instid1(VALU_DEP_2)
	v_add_f64 v[8:9], v[239:240], v[8:9]
	v_add_f64 v[32:33], v[50:51], v[32:33]
	v_fma_f64 v[50:51], v[18:19], s[36:37], v[52:53]
	s_delay_alu instid0(VALU_DEP_1) | instskip(SKIP_1) | instid1(VALU_DEP_1)
	v_add_f64 v[8:9], v[50:51], v[8:9]
	v_mul_f64 v[50:51], v[30:31], s[28:29]
	v_fma_f64 v[52:53], v[28:29], s[24:25], -v[50:51]
	v_fma_f64 v[50:51], v[28:29], s[24:25], v[50:51]
	s_delay_alu instid0(VALU_DEP_2) | instskip(NEXT) | instid1(VALU_DEP_2)
	v_add_f64 v[32:33], v[52:53], v[32:33]
	v_add_f64 v[8:9], v[50:51], v[8:9]
	v_mul_f64 v[50:51], v[112:113], s[34:35]
	s_delay_alu instid0(VALU_DEP_1) | instskip(SKIP_1) | instid1(VALU_DEP_2)
	v_fma_f64 v[52:53], v[42:43], s[2:3], -v[50:51]
	v_fma_f64 v[50:51], v[42:43], s[2:3], v[50:51]
	v_add_f64 v[32:33], v[52:53], v[32:33]
	s_delay_alu instid0(VALU_DEP_2) | instskip(SKIP_1) | instid1(VALU_DEP_1)
	v_add_f64 v[8:9], v[50:51], v[8:9]
	v_mul_f64 v[50:51], v[134:135], s[14:15]
	v_fma_f64 v[52:53], v[118:119], s[12:13], -v[50:51]
	v_fma_f64 v[50:51], v[118:119], s[12:13], v[50:51]
	s_delay_alu instid0(VALU_DEP_2) | instskip(NEXT) | instid1(VALU_DEP_2)
	v_add_f64 v[32:33], v[52:53], v[32:33]
	v_add_f64 v[8:9], v[50:51], v[8:9]
	v_mul_f64 v[50:51], v[249:250], s[38:39]
	s_delay_alu instid0(VALU_DEP_1) | instskip(SKIP_1) | instid1(VALU_DEP_2)
	v_fma_f64 v[52:53], v[247:248], s[10:11], -v[50:51]
	v_fma_f64 v[50:51], v[247:248], s[10:11], v[50:51]
	v_add_f64 v[32:33], v[52:53], v[32:33]
	s_delay_alu instid0(VALU_DEP_2) | instskip(SKIP_1) | instid1(VALU_DEP_1)
	v_add_f64 v[8:9], v[50:51], v[8:9]
	v_mul_f64 v[50:51], v[68:69], s[26:27]
	v_fma_f64 v[52:53], v[234:235], s[22:23], -v[50:51]
	v_fma_f64 v[50:51], v[234:235], s[22:23], v[50:51]
	s_delay_alu instid0(VALU_DEP_2) | instskip(NEXT) | instid1(VALU_DEP_2)
	v_add_f64 v[32:33], v[52:53], v[32:33]
	v_add_f64 v[8:9], v[50:51], v[8:9]
	v_mul_f64 v[50:51], v[76:77], s[50:51]
	s_delay_alu instid0(VALU_DEP_1) | instskip(SKIP_1) | instid1(VALU_DEP_2)
	v_fma_f64 v[52:53], v[74:75], s[6:7], -v[50:51]
	v_fma_f64 v[50:51], v[74:75], s[6:7], v[50:51]
	v_add_f64 v[32:33], v[52:53], v[32:33]
	s_delay_alu instid0(VALU_DEP_2) | instskip(SKIP_4) | instid1(VALU_DEP_2)
	v_add_f64 v[8:9], v[50:51], v[8:9]
	v_fma_f64 v[50:51], v[18:19], s[10:11], v[142:143]
	ds_store_2addr_b64 v108, v[32:33], v[8:9] offset0:56 offset1:63
	v_fma_f64 v[8:9], v[6:7], s[12:13], v[82:83]
	v_fma_f64 v[32:33], v[18:19], s[22:23], v[106:107]
	v_add_f64 v[8:9], v[239:240], v[8:9]
	s_delay_alu instid0(VALU_DEP_1) | instskip(SKIP_1) | instid1(VALU_DEP_1)
	v_add_f64 v[8:9], v[32:33], v[8:9]
	v_fma_f64 v[32:33], v[6:7], s[24:25], v[100:101]
	v_add_f64 v[32:33], v[239:240], v[32:33]
	s_delay_alu instid0(VALU_DEP_1) | instskip(SKIP_1) | instid1(VALU_DEP_1)
	v_add_f64 v[32:33], v[50:51], v[32:33]
	v_fma_f64 v[50:51], v[28:29], s[36:37], v[140:141]
	v_add_f64 v[8:9], v[50:51], v[8:9]
	v_fma_f64 v[50:51], v[28:29], s[6:7], v[88:89]
	s_delay_alu instid0(VALU_DEP_1) | instskip(SKIP_1) | instid1(VALU_DEP_1)
	v_add_f64 v[32:33], v[50:51], v[32:33]
	v_fma_f64 v[50:51], v[42:43], s[24:25], v[102:103]
	v_add_f64 v[8:9], v[50:51], v[8:9]
	v_fma_f64 v[50:51], v[42:43], s[12:13], v[64:65]
	;; [unrolled: 5-line block ×3, first 2 shown]
	s_delay_alu instid0(VALU_DEP_2) | instskip(NEXT) | instid1(VALU_DEP_2)
	v_add_f64 v[8:9], v[34:35], v[8:9]
	v_add_f64 v[32:33], v[50:51], v[32:33]
	v_fma_f64 v[34:35], v[247:248], s[18:19], v[44:45]
	s_delay_alu instid0(VALU_DEP_1) | instskip(SKIP_1) | instid1(VALU_DEP_1)
	v_add_f64 v[32:33], v[34:35], v[32:33]
	v_fma_f64 v[34:35], v[234:235], s[18:19], v[164:165]
	v_add_f64 v[8:9], v[34:35], v[8:9]
	v_fma_f64 v[34:35], v[234:235], s[2:3], v[60:61]
	s_delay_alu instid0(VALU_DEP_1) | instskip(SKIP_1) | instid1(VALU_DEP_1)
	v_add_f64 v[32:33], v[34:35], v[32:33]
	v_fma_f64 v[34:35], v[74:75], s[10:11], v[48:49]
	v_add_f64 v[8:9], v[34:35], v[8:9]
	v_fma_f64 v[34:35], v[74:75], s[22:23], v[46:47]
	s_delay_alu instid0(VALU_DEP_1) | instskip(SKIP_4) | instid1(VALU_DEP_2)
	v_add_f64 v[32:33], v[34:35], v[32:33]
	v_fma_f64 v[34:35], v[18:19], s[24:25], v[90:91]
	ds_store_2addr_b64 v108, v[32:33], v[8:9] offset0:70 offset1:77
	v_fma_f64 v[8:9], v[6:7], s[6:7], v[36:37]
	v_fma_f64 v[32:33], v[18:19], s[18:19], v[84:85]
	v_add_f64 v[8:9], v[239:240], v[8:9]
	s_delay_alu instid0(VALU_DEP_1) | instskip(SKIP_1) | instid1(VALU_DEP_1)
	v_add_f64 v[8:9], v[32:33], v[8:9]
	v_fma_f64 v[32:33], v[6:7], s[22:23], v[86:87]
	v_add_f64 v[32:33], v[239:240], v[32:33]
	s_delay_alu instid0(VALU_DEP_1) | instskip(SKIP_1) | instid1(VALU_DEP_1)
	v_add_f64 v[32:33], v[34:35], v[32:33]
	v_fma_f64 v[34:35], v[28:29], s[22:23], v[92:93]
	v_add_f64 v[8:9], v[34:35], v[8:9]
	v_fma_f64 v[34:35], v[28:29], s[2:3], v[94:95]
	s_delay_alu instid0(VALU_DEP_1) | instskip(SKIP_1) | instid1(VALU_DEP_1)
	v_add_f64 v[32:33], v[34:35], v[32:33]
	v_fma_f64 v[34:35], v[42:43], s[36:37], v[96:97]
	v_add_f64 v[8:9], v[34:35], v[8:9]
	v_fma_f64 v[34:35], v[42:43], s[10:11], v[122:123]
	;; [unrolled: 5-line block ×6, first 2 shown]
	s_delay_alu instid0(VALU_DEP_1) | instskip(SKIP_4) | instid1(VALU_DEP_3)
	v_add_f64 v[32:33], v[34:35], v[32:33]
	ds_store_2addr_b64 v108, v[32:33], v[8:9] offset0:84 offset1:91
	v_fma_f64 v[8:9], v[6:7], s[2:3], v[16:17]
	v_fma_f64 v[16:17], v[18:19], s[6:7], v[22:23]
	;; [unrolled: 1-line block ×3, first 2 shown]
	v_add_f64 v[8:9], v[239:240], v[8:9]
	s_delay_alu instid0(VALU_DEP_1) | instskip(SKIP_1) | instid1(VALU_DEP_1)
	v_add_f64 v[8:9], v[16:17], v[8:9]
	v_fma_f64 v[16:17], v[6:7], s[10:11], v[24:25]
	v_add_f64 v[16:17], v[239:240], v[16:17]
	s_delay_alu instid0(VALU_DEP_1) | instskip(SKIP_1) | instid1(VALU_DEP_1)
	v_add_f64 v[16:17], v[22:23], v[16:17]
	v_fma_f64 v[22:23], v[28:29], s[12:13], v[38:39]
	v_add_f64 v[8:9], v[22:23], v[8:9]
	v_fma_f64 v[22:23], v[28:29], s[18:19], v[40:41]
	v_add_f64 v[40:41], v[190:191], -v[146:147]
	s_delay_alu instid0(VALU_DEP_2) | instskip(SKIP_1) | instid1(VALU_DEP_3)
	v_add_f64 v[16:17], v[22:23], v[16:17]
	v_fma_f64 v[22:23], v[42:43], s[18:19], v[114:115]
	v_mul_f64 v[86:87], v[40:41], s[20:21]
	v_mul_f64 v[88:89], v[40:41], s[44:45]
	s_delay_alu instid0(VALU_DEP_3) | instskip(SKIP_1) | instid1(VALU_DEP_1)
	v_add_f64 v[8:9], v[22:23], v[8:9]
	v_fma_f64 v[22:23], v[42:43], s[22:23], v[116:117]
	v_add_f64 v[16:17], v[22:23], v[16:17]
	v_fma_f64 v[22:23], v[118:119], s[24:25], v[243:244]
	s_delay_alu instid0(VALU_DEP_1) | instskip(SKIP_1) | instid1(VALU_DEP_1)
	v_add_f64 v[8:9], v[22:23], v[8:9]
	v_fma_f64 v[22:23], v[118:119], s[2:3], v[245:246]
	v_add_f64 v[16:17], v[22:23], v[16:17]
	v_fma_f64 v[22:23], v[247:248], s[22:23], v[251:252]
	v_dual_mov_b32 v252, v209 :: v_dual_mov_b32 v251, v208
	s_delay_alu instid0(VALU_DEP_2) | instskip(SKIP_1) | instid1(VALU_DEP_1)
	v_add_f64 v[8:9], v[22:23], v[8:9]
	v_fma_f64 v[22:23], v[247:248], s[36:37], v[253:254]
	v_add_f64 v[16:17], v[22:23], v[16:17]
	v_fma_f64 v[22:23], v[234:235], s[10:11], v[70:71]
	v_add_f64 v[70:71], v[178:179], -v[154:155]
	s_delay_alu instid0(VALU_DEP_2) | instskip(SKIP_1) | instid1(VALU_DEP_3)
	v_add_f64 v[8:9], v[22:23], v[8:9]
	v_fma_f64 v[22:23], v[234:235], s[6:7], v[72:73]
	v_mul_f64 v[92:93], v[70:71], s[38:39]
	v_mul_f64 v[94:95], v[70:71], s[16:17]
	s_delay_alu instid0(VALU_DEP_3) | instskip(SKIP_1) | instid1(VALU_DEP_1)
	v_add_f64 v[16:17], v[22:23], v[16:17]
	v_fma_f64 v[22:23], v[74:75], s[36:37], v[78:79]
	v_add_f64 v[8:9], v[22:23], v[8:9]
	v_fma_f64 v[22:23], v[74:75], s[24:25], v[80:81]
	s_delay_alu instid0(VALU_DEP_1) | instskip(SKIP_3) | instid1(VALU_DEP_2)
	v_add_f64 v[16:17], v[22:23], v[16:17]
	ds_store_2addr_b64 v108, v[16:17], v[8:9] offset0:98 offset1:105
	v_mul_f64 v[8:9], v[14:15], s[42:43]
	v_mul_f64 v[14:15], v[20:21], s[30:31]
	v_fma_f64 v[16:17], v[6:7], s[36:37], -v[8:9]
	s_delay_alu instid0(VALU_DEP_2) | instskip(SKIP_2) | instid1(VALU_DEP_4)
	v_fma_f64 v[20:21], v[18:19], s[2:3], -v[14:15]
	v_fma_f64 v[6:7], v[6:7], s[36:37], v[8:9]
	v_fma_f64 v[8:9], v[18:19], s[2:3], v[14:15]
	v_add_f64 v[16:17], v[239:240], v[16:17]
	s_delay_alu instid0(VALU_DEP_3) | instskip(NEXT) | instid1(VALU_DEP_2)
	v_add_f64 v[6:7], v[239:240], v[6:7]
	v_add_f64 v[16:17], v[20:21], v[16:17]
	v_mul_f64 v[20:21], v[30:31], s[46:47]
	s_delay_alu instid0(VALU_DEP_3) | instskip(NEXT) | instid1(VALU_DEP_2)
	v_add_f64 v[8:9], v[8:9], v[6:7]
	v_fma_f64 v[22:23], v[28:29], s[10:11], -v[20:21]
	v_fma_f64 v[14:15], v[28:29], s[10:11], v[20:21]
	s_delay_alu instid0(VALU_DEP_2) | instskip(SKIP_1) | instid1(VALU_DEP_3)
	v_add_f64 v[16:17], v[22:23], v[16:17]
	v_mul_f64 v[22:23], v[112:113], s[16:17]
	v_add_f64 v[8:9], v[14:15], v[8:9]
	s_delay_alu instid0(VALU_DEP_2) | instskip(NEXT) | instid1(VALU_DEP_1)
	v_fma_f64 v[24:25], v[42:43], s[6:7], -v[22:23]
	v_add_f64 v[16:17], v[24:25], v[16:17]
	v_mul_f64 v[24:25], v[134:135], s[26:27]
	s_delay_alu instid0(VALU_DEP_1) | instskip(SKIP_2) | instid1(VALU_DEP_3)
	v_fma_f64 v[26:27], v[118:119], s[22:23], -v[24:25]
	v_fma_f64 v[18:19], v[118:119], s[22:23], v[24:25]
	v_add_f64 v[24:25], v[206:207], -v[55:56]
	v_add_f64 v[16:17], v[26:27], v[16:17]
	v_mul_f64 v[26:27], v[249:250], s[14:15]
	s_delay_alu instid0(VALU_DEP_3)
	v_mul_f64 v[78:79], v[24:25], s[16:17]
	v_mul_f64 v[80:81], v[24:25], s[14:15]
	;; [unrolled: 1-line block ×4, first 2 shown]
	v_fma_f64 v[30:31], v[247:248], s[12:13], -v[26:27]
	v_fma_f64 v[20:21], v[247:248], s[12:13], v[26:27]
	v_add_f64 v[26:27], v[208:209], -v[10:11]
	s_delay_alu instid0(VALU_DEP_3) | instskip(SKIP_1) | instid1(VALU_DEP_3)
	v_add_f64 v[16:17], v[30:31], v[16:17]
	v_mul_f64 v[30:31], v[68:69], s[28:29]
	v_mul_f64 v[72:73], v[26:27], s[30:31]
	v_add_f64 v[68:69], v[174:175], -v[180:181]
	s_delay_alu instid0(VALU_DEP_3) | instskip(SKIP_1) | instid1(VALU_DEP_3)
	v_fma_f64 v[32:33], v[234:235], s[24:25], -v[30:31]
	v_fma_f64 v[28:29], v[234:235], s[24:25], v[30:31]
	v_mul_f64 v[116:117], v[68:69], s[44:45]
	v_mul_f64 v[90:91], v[68:69], s[42:43]
	s_delay_alu instid0(VALU_DEP_4) | instskip(SKIP_2) | instid1(VALU_DEP_2)
	v_add_f64 v[16:17], v[32:33], v[16:17]
	v_mul_f64 v[32:33], v[76:77], s[20:21]
	v_mul_f64 v[76:77], v[26:27], s[46:47]
	v_fma_f64 v[34:35], v[74:75], s[18:19], -v[32:33]
	v_fma_f64 v[32:33], v[74:75], s[18:19], v[32:33]
	v_add_f64 v[74:75], v[166:167], -v[168:169]
	s_delay_alu instid0(VALU_DEP_3) | instskip(SKIP_1) | instid1(VALU_DEP_3)
	v_add_f64 v[16:17], v[34:35], v[16:17]
	v_add_f64 v[34:35], v[239:240], v[2:3]
	v_mul_f64 v[96:97], v[74:75], s[40:41]
	v_mul_f64 v[118:119], v[74:75], s[28:29]
	s_delay_alu instid0(VALU_DEP_3) | instskip(NEXT) | instid1(VALU_DEP_1)
	v_add_f64 v[34:35], v[34:35], v[222:223]
	v_add_f64 v[34:35], v[34:35], v[224:225]
	s_delay_alu instid0(VALU_DEP_1) | instskip(NEXT) | instid1(VALU_DEP_1)
	v_add_f64 v[34:35], v[34:35], v[216:217]
	v_add_f64 v[34:35], v[34:35], v[228:229]
	s_delay_alu instid0(VALU_DEP_1) | instskip(NEXT) | instid1(VALU_DEP_1)
	v_add_f64 v[34:35], v[34:35], v[202:203]
	v_add_f64 v[34:35], v[34:35], v[198:199]
	v_dual_mov_b32 v198, v204 :: v_dual_mov_b32 v199, v205
	v_dual_mov_b32 v205, v11 :: v_dual_mov_b32 v204, v10
	scratch_load_b64 v[10:11], off, off offset:564 ; 8-byte Folded Reload
	v_add_f64 v[34:35], v[34:35], v[198:199]
	s_delay_alu instid0(VALU_DEP_1) | instskip(NEXT) | instid1(VALU_DEP_1)
	v_add_f64 v[34:35], v[34:35], v[200:201]
	v_add_f64 v[34:35], v[34:35], v[226:227]
	s_delay_alu instid0(VALU_DEP_1) | instskip(NEXT) | instid1(VALU_DEP_1)
	v_add_f64 v[34:35], v[34:35], v[156:157]
	;; [unrolled: 3-line block ×4, first 2 shown]
	v_add_f64 v[34:35], v[34:35], v[241:242]
	ds_store_2addr_b64 v108, v[34:35], v[16:17] offset1:7
	v_fma_f64 v[16:17], v[42:43], s[6:7], v[22:23]
	s_waitcnt vmcnt(0)
	v_add_f64 v[22:23], v[218:219], v[10:11]
	s_clause 0x3
	scratch_store_b64 off, v[55:56], off offset:344
	scratch_store_b64 off, v[206:207], off offset:484
	;; [unrolled: 1-line block ×4, first 2 shown]
	v_add_f64 v[42:43], v[188:189], -v[150:151]
	v_add_f64 v[8:9], v[16:17], v[8:9]
	v_fma_f64 v[6:7], v[22:23], s[2:3], -v[72:73]
	v_add_f64 v[16:17], v[192:193], v[144:145]
	s_delay_alu instid0(VALU_DEP_4)
	v_mul_f64 v[112:113], v[42:43], s[52:53]
	v_mul_f64 v[114:115], v[42:43], s[34:35]
	v_add_f64 v[8:9], v[18:19], v[8:9]
	v_add_f64 v[30:31], v[4:5], v[6:7]
	;; [unrolled: 1-line block ×4, first 2 shown]
	s_delay_alu instid0(VALU_DEP_4) | instskip(SKIP_1) | instid1(VALU_DEP_4)
	v_add_f64 v[8:9], v[20:21], v[8:9]
	v_add_f64 v[20:21], v[184:185], v[186:187]
	v_fma_f64 v[34:35], v[6:7], s[6:7], -v[78:79]
	v_fma_f64 v[36:37], v[6:7], s[12:13], -v[80:81]
	;; [unrolled: 1-line block ×4, first 2 shown]
	v_add_f64 v[8:9], v[28:29], v[8:9]
	v_add_f64 v[28:29], v[182:183], v[158:159]
	v_add_f64 v[34:35], v[34:35], v[30:31]
	v_fma_f64 v[30:31], v[22:23], s[10:11], -v[76:77]
	s_delay_alu instid0(VALU_DEP_4) | instskip(NEXT) | instid1(VALU_DEP_2)
	v_add_f64 v[8:9], v[32:33], v[8:9]
	v_add_f64 v[30:31], v[4:5], v[30:31]
	s_delay_alu instid0(VALU_DEP_1)
	v_add_f64 v[36:37], v[36:37], v[30:31]
	v_add_f64 v[30:31], v[128:129], -v[62:63]
	scratch_load_b64 v[128:129], off, off offset:556 ; 8-byte Folded Reload
	s_clause 0x5
	scratch_store_b64 off, v[146:147], off offset:368
	scratch_store_b64 off, v[190:191], off offset:452
	;; [unrolled: 1-line block ×6, first 2 shown]
	v_mov_b32_e32 v174, v178
	s_clause 0x2
	scratch_store_b64 off, v[154:155], off offset:360
	scratch_store_b64 off, v[166:167], off offset:304
	scratch_store_b64 off, v[168:169], off offset:320
	ds_store_b64 v108, v[8:9] offset:896
	v_and_b32_e32 v8, 0xffff, v98
	v_dual_mov_b32 v154, v184 :: v_dual_lshlrev_b32 v9, 3, v99
	v_dual_mov_b32 v155, v185 :: v_dual_mov_b32 v184, v210
	v_dual_mov_b32 v185, v211 :: v_dual_mov_b32 v180, v194
	v_mov_b32_e32 v181, v195
	s_clause 0x1
	scratch_store_b64 off, v[182:183], off offset:396
	scratch_store_b64 off, v[186:187], off offset:436
	v_mov_b32_e32 v175, v179
	scratch_store_b64 off, v[172:173], off offset:328 ; 8-byte Folded Spill
	v_mul_f64 v[82:83], v[30:31], s[14:15]
	v_mul_f64 v[84:85], v[30:31], s[48:49]
	s_waitcnt vmcnt(0)
	v_add_f64 v[14:15], v[128:129], v[57:58]
	v_mov_b32_e32 v59, v58
	v_mad_u32_u24 v8, 0x3b8, v8, 0
	v_mov_b32_e32 v58, v57
	s_delay_alu instid0(VALU_DEP_2) | instskip(SKIP_2) | instid1(VALU_DEP_1)
	v_add3_u32 v109, v8, v9, v54
	v_mul_f64 v[8:9], v[26:27], s[16:17]
	v_fma_f64 v[38:39], v[14:15], s[12:13], -v[82:83]
	v_add_f64 v[34:35], v[38:39], v[34:35]
	v_fma_f64 v[38:39], v[14:15], s[18:19], -v[84:85]
	s_delay_alu instid0(VALU_DEP_1) | instskip(SKIP_1) | instid1(VALU_DEP_1)
	v_add_f64 v[36:37], v[38:39], v[36:37]
	v_fma_f64 v[38:39], v[16:17], s[18:19], -v[86:87]
	v_add_f64 v[34:35], v[38:39], v[34:35]
	v_fma_f64 v[38:39], v[16:17], s[22:23], -v[88:89]
	s_delay_alu instid0(VALU_DEP_1) | instskip(SKIP_1) | instid1(VALU_DEP_1)
	v_add_f64 v[36:37], v[38:39], v[36:37]
	;; [unrolled: 5-line block ×5, first 2 shown]
	v_add_f64 v[38:39], v[172:173], v[176:177]
	v_fma_f64 v[32:33], v[38:39], s[36:37], -v[96:97]
	s_delay_alu instid0(VALU_DEP_1) | instskip(SKIP_1) | instid1(VALU_DEP_1)
	v_add_f64 v[32:33], v[32:33], v[34:35]
	v_fma_f64 v[34:35], v[38:39], s[24:25], -v[118:119]
	v_add_f64 v[34:35], v[34:35], v[36:37]
	ds_store_2addr_b64 v109, v[32:33], v[34:35] offset0:14 offset1:21
	v_fma_f64 v[32:33], v[22:23], s[6:7], -v[8:9]
	v_mul_f64 v[34:35], v[24:25], s[20:21]
	v_fma_f64 v[8:9], v[22:23], s[6:7], v[8:9]
	s_delay_alu instid0(VALU_DEP_3) | instskip(NEXT) | instid1(VALU_DEP_3)
	v_add_f64 v[32:33], v[4:5], v[32:33]
	v_fma_f64 v[36:37], v[6:7], s[18:19], -v[34:35]
	s_delay_alu instid0(VALU_DEP_3) | instskip(NEXT) | instid1(VALU_DEP_2)
	v_add_f64 v[8:9], v[4:5], v[8:9]
	v_add_f64 v[32:33], v[36:37], v[32:33]
	v_mul_f64 v[36:37], v[26:27], s[26:27]
	s_delay_alu instid0(VALU_DEP_1) | instskip(NEXT) | instid1(VALU_DEP_1)
	v_fma_f64 v[44:45], v[22:23], s[22:23], -v[36:37]
	v_add_f64 v[44:45], v[4:5], v[44:45]
	s_delay_alu instid0(VALU_DEP_1) | instskip(SKIP_1) | instid1(VALU_DEP_1)
	v_add_f64 v[44:45], v[48:49], v[44:45]
	v_mul_f64 v[48:49], v[30:31], s[44:45]
	v_fma_f64 v[50:51], v[14:15], s[22:23], -v[48:49]
	s_delay_alu instid0(VALU_DEP_1) | instskip(SKIP_1) | instid1(VALU_DEP_1)
	v_add_f64 v[32:33], v[50:51], v[32:33]
	v_mul_f64 v[50:51], v[30:31], s[34:35]
	v_fma_f64 v[52:53], v[14:15], s[2:3], -v[50:51]
	;; [unrolled: 4-line block ×12, first 2 shown]
	s_delay_alu instid0(VALU_DEP_1) | instskip(SKIP_4) | instid1(VALU_DEP_2)
	v_add_f64 v[44:45], v[120:121], v[44:45]
	v_mul_f64 v[120:121], v[24:25], s[44:45]
	ds_store_2addr_b64 v109, v[32:33], v[44:45] offset0:28 offset1:35
	v_mul_f64 v[32:33], v[26:27], s[14:15]
	v_fma_f64 v[122:123], v[6:7], s[22:23], -v[120:121]
	v_fma_f64 v[44:45], v[22:23], s[12:13], -v[32:33]
	v_fma_f64 v[32:33], v[22:23], s[12:13], v[32:33]
	s_delay_alu instid0(VALU_DEP_2) | instskip(NEXT) | instid1(VALU_DEP_2)
	v_add_f64 v[44:45], v[4:5], v[44:45]
	v_add_f64 v[32:33], v[4:5], v[32:33]
	s_delay_alu instid0(VALU_DEP_2) | instskip(SKIP_1) | instid1(VALU_DEP_1)
	v_add_f64 v[44:45], v[122:123], v[44:45]
	v_mul_f64 v[122:123], v[26:27], s[28:29]
	v_fma_f64 v[124:125], v[22:23], s[24:25], -v[122:123]
	s_delay_alu instid0(VALU_DEP_1) | instskip(NEXT) | instid1(VALU_DEP_1)
	v_add_f64 v[124:125], v[4:5], v[124:125]
	v_add_f64 v[124:125], v[132:133], v[124:125]
	v_mul_f64 v[132:133], v[30:31], s[42:43]
	s_delay_alu instid0(VALU_DEP_1) | instskip(NEXT) | instid1(VALU_DEP_1)
	v_fma_f64 v[134:135], v[14:15], s[36:37], -v[132:133]
	v_add_f64 v[44:45], v[134:135], v[44:45]
	v_mul_f64 v[134:135], v[30:31], s[16:17]
	s_delay_alu instid0(VALU_DEP_1) | instskip(NEXT) | instid1(VALU_DEP_1)
	v_fma_f64 v[136:137], v[14:15], s[6:7], -v[134:135]
	;; [unrolled: 4-line block ×12, first 2 shown]
	v_add_f64 v[124:125], v[247:248], v[124:125]
	v_mul_f64 v[247:248], v[24:25], s[40:41]
	v_mul_f64 v[24:25], v[24:25], s[30:31]
	ds_store_2addr_b64 v109, v[44:45], v[124:125] offset0:42 offset1:49
	v_mul_f64 v[44:45], v[26:27], s[20:21]
	v_fma_f64 v[249:250], v[6:7], s[36:37], -v[247:248]
	v_fma_f64 v[247:248], v[6:7], s[36:37], v[247:248]
	s_delay_alu instid0(VALU_DEP_3) | instskip(SKIP_1) | instid1(VALU_DEP_2)
	v_fma_f64 v[124:125], v[22:23], s[18:19], -v[44:45]
	v_fma_f64 v[44:45], v[22:23], s[18:19], v[44:45]
	v_add_f64 v[124:125], v[4:5], v[124:125]
	s_delay_alu instid0(VALU_DEP_2) | instskip(NEXT) | instid1(VALU_DEP_2)
	v_add_f64 v[44:45], v[4:5], v[44:45]
	v_add_f64 v[124:125], v[249:250], v[124:125]
	s_delay_alu instid0(VALU_DEP_2) | instskip(SKIP_1) | instid1(VALU_DEP_1)
	v_add_f64 v[44:45], v[247:248], v[44:45]
	v_mul_f64 v[247:248], v[30:31], s[28:29]
	v_fma_f64 v[249:250], v[14:15], s[24:25], -v[247:248]
	v_fma_f64 v[247:248], v[14:15], s[24:25], v[247:248]
	s_delay_alu instid0(VALU_DEP_2) | instskip(NEXT) | instid1(VALU_DEP_2)
	v_add_f64 v[124:125], v[249:250], v[124:125]
	v_add_f64 v[44:45], v[247:248], v[44:45]
	v_mul_f64 v[247:248], v[40:41], s[34:35]
	s_delay_alu instid0(VALU_DEP_1) | instskip(SKIP_1) | instid1(VALU_DEP_2)
	v_fma_f64 v[249:250], v[16:17], s[2:3], -v[247:248]
	v_fma_f64 v[247:248], v[16:17], s[2:3], v[247:248]
	v_add_f64 v[124:125], v[249:250], v[124:125]
	s_delay_alu instid0(VALU_DEP_2) | instskip(SKIP_1) | instid1(VALU_DEP_1)
	v_add_f64 v[44:45], v[247:248], v[44:45]
	v_mul_f64 v[247:248], v[42:43], s[14:15]
	v_fma_f64 v[249:250], v[18:19], s[12:13], -v[247:248]
	v_fma_f64 v[247:248], v[18:19], s[12:13], v[247:248]
	s_delay_alu instid0(VALU_DEP_2) | instskip(NEXT) | instid1(VALU_DEP_2)
	v_add_f64 v[124:125], v[249:250], v[124:125]
	v_add_f64 v[44:45], v[247:248], v[44:45]
	v_mul_f64 v[247:248], v[68:69], s[38:39]
	s_delay_alu instid0(VALU_DEP_1) | instskip(SKIP_1) | instid1(VALU_DEP_2)
	v_fma_f64 v[249:250], v[20:21], s[10:11], -v[247:248]
	v_fma_f64 v[247:248], v[20:21], s[10:11], v[247:248]
	;; [unrolled: 13-line block ×3, first 2 shown]
	v_add_f64 v[124:125], v[249:250], v[124:125]
	s_delay_alu instid0(VALU_DEP_2) | instskip(SKIP_3) | instid1(VALU_DEP_2)
	v_add_f64 v[44:45], v[247:248], v[44:45]
	ds_store_2addr_b64 v109, v[124:125], v[44:45] offset0:56 offset1:63
	v_fma_f64 v[44:45], v[6:7], s[22:23], v[120:121]
	v_fma_f64 v[120:121], v[6:7], s[10:11], v[130:131]
	v_add_f64 v[32:33], v[44:45], v[32:33]
	v_fma_f64 v[44:45], v[22:23], s[24:25], v[122:123]
	s_delay_alu instid0(VALU_DEP_1) | instskip(NEXT) | instid1(VALU_DEP_1)
	v_add_f64 v[44:45], v[4:5], v[44:45]
	v_add_f64 v[44:45], v[120:121], v[44:45]
	v_fma_f64 v[120:121], v[14:15], s[36:37], v[132:133]
	s_delay_alu instid0(VALU_DEP_1) | instskip(SKIP_1) | instid1(VALU_DEP_1)
	v_add_f64 v[32:33], v[120:121], v[32:33]
	v_fma_f64 v[120:121], v[14:15], s[6:7], v[134:135]
	v_add_f64 v[44:45], v[120:121], v[44:45]
	v_fma_f64 v[120:121], v[16:17], s[24:25], v[136:137]
	s_delay_alu instid0(VALU_DEP_1) | instskip(SKIP_1) | instid1(VALU_DEP_1)
	v_add_f64 v[32:33], v[120:121], v[32:33]
	v_fma_f64 v[120:121], v[16:17], s[12:13], v[138:139]
	;; [unrolled: 5-line block ×6, first 2 shown]
	v_add_f64 v[44:45], v[120:121], v[44:45]
	ds_store_2addr_b64 v109, v[44:45], v[32:33] offset0:70 offset1:77
	v_fma_f64 v[32:33], v[6:7], s[18:19], v[34:35]
	v_fma_f64 v[34:35], v[6:7], s[24:25], v[46:47]
	s_delay_alu instid0(VALU_DEP_2) | instskip(SKIP_1) | instid1(VALU_DEP_1)
	v_add_f64 v[8:9], v[32:33], v[8:9]
	v_fma_f64 v[32:33], v[22:23], s[22:23], v[36:37]
	v_add_f64 v[32:33], v[4:5], v[32:33]
	s_delay_alu instid0(VALU_DEP_1) | instskip(SKIP_1) | instid1(VALU_DEP_1)
	v_add_f64 v[32:33], v[34:35], v[32:33]
	v_fma_f64 v[34:35], v[14:15], s[22:23], v[48:49]
	v_add_f64 v[8:9], v[34:35], v[8:9]
	v_fma_f64 v[34:35], v[14:15], s[2:3], v[50:51]
	s_delay_alu instid0(VALU_DEP_1) | instskip(SKIP_1) | instid1(VALU_DEP_1)
	v_add_f64 v[32:33], v[34:35], v[32:33]
	v_fma_f64 v[34:35], v[16:17], s[36:37], v[52:53]
	v_add_f64 v[8:9], v[34:35], v[8:9]
	v_fma_f64 v[34:35], v[16:17], s[10:11], v[60:61]
	;; [unrolled: 5-line block ×6, first 2 shown]
	s_delay_alu instid0(VALU_DEP_1) | instskip(SKIP_4) | instid1(VALU_DEP_2)
	v_add_f64 v[32:33], v[34:35], v[32:33]
	v_fma_f64 v[34:35], v[6:7], s[12:13], v[80:81]
	ds_store_2addr_b64 v109, v[32:33], v[8:9] offset0:84 offset1:91
	v_fma_f64 v[8:9], v[22:23], s[2:3], v[72:73]
	v_fma_f64 v[32:33], v[6:7], s[6:7], v[78:79]
	v_add_f64 v[8:9], v[4:5], v[8:9]
	s_delay_alu instid0(VALU_DEP_1) | instskip(SKIP_1) | instid1(VALU_DEP_1)
	v_add_f64 v[8:9], v[32:33], v[8:9]
	v_fma_f64 v[32:33], v[22:23], s[10:11], v[76:77]
	v_add_f64 v[32:33], v[4:5], v[32:33]
	s_delay_alu instid0(VALU_DEP_1) | instskip(SKIP_1) | instid1(VALU_DEP_1)
	v_add_f64 v[32:33], v[34:35], v[32:33]
	v_fma_f64 v[34:35], v[14:15], s[12:13], v[82:83]
	v_add_f64 v[8:9], v[34:35], v[8:9]
	v_fma_f64 v[34:35], v[14:15], s[18:19], v[84:85]
	s_delay_alu instid0(VALU_DEP_1) | instskip(SKIP_1) | instid1(VALU_DEP_1)
	v_add_f64 v[32:33], v[34:35], v[32:33]
	v_fma_f64 v[34:35], v[16:17], s[18:19], v[86:87]
	v_add_f64 v[8:9], v[34:35], v[8:9]
	v_fma_f64 v[34:35], v[16:17], s[22:23], v[88:89]
	;; [unrolled: 5-line block ×6, first 2 shown]
	s_delay_alu instid0(VALU_DEP_1) | instskip(SKIP_2) | instid1(VALU_DEP_1)
	v_add_f64 v[32:33], v[34:35], v[32:33]
	ds_store_2addr_b64 v109, v[32:33], v[8:9] offset0:98 offset1:105
	v_mul_f64 v[8:9], v[26:27], s[42:43]
	v_fma_f64 v[26:27], v[22:23], s[36:37], -v[8:9]
	v_fma_f64 v[8:9], v[22:23], s[36:37], v[8:9]
	s_delay_alu instid0(VALU_DEP_2) | instskip(NEXT) | instid1(VALU_DEP_2)
	v_add_f64 v[22:23], v[4:5], v[26:27]
	v_add_f64 v[8:9], v[4:5], v[8:9]
	;; [unrolled: 1-line block ×3, first 2 shown]
	v_fma_f64 v[26:27], v[6:7], s[2:3], -v[24:25]
	s_delay_alu instid0(VALU_DEP_2) | instskip(NEXT) | instid1(VALU_DEP_2)
	v_add_f64 v[4:5], v[4:5], v[184:185]
	v_add_f64 v[22:23], v[26:27], v[22:23]
	v_mul_f64 v[26:27], v[30:31], s[46:47]
	s_delay_alu instid0(VALU_DEP_3) | instskip(NEXT) | instid1(VALU_DEP_2)
	v_add_f64 v[4:5], v[4:5], v[128:129]
	v_fma_f64 v[30:31], v[14:15], s[10:11], -v[26:27]
	s_delay_alu instid0(VALU_DEP_2) | instskip(NEXT) | instid1(VALU_DEP_2)
	v_add_f64 v[4:5], v[4:5], v[192:193]
	v_add_f64 v[22:23], v[30:31], v[22:23]
	v_mul_f64 v[30:31], v[40:41], s[16:17]
	s_delay_alu instid0(VALU_DEP_3) | instskip(NEXT) | instid1(VALU_DEP_2)
	v_add_f64 v[4:5], v[4:5], v[180:181]
	v_fma_f64 v[32:33], v[16:17], s[6:7], -v[30:31]
	s_delay_alu instid0(VALU_DEP_2) | instskip(NEXT) | instid1(VALU_DEP_2)
	v_add_f64 v[4:5], v[4:5], v[154:155]
	v_add_f64 v[22:23], v[32:33], v[22:23]
	v_mul_f64 v[32:33], v[42:43], s[26:27]
	s_delay_alu instid0(VALU_DEP_3) | instskip(SKIP_1) | instid1(VALU_DEP_3)
	v_add_f64 v[4:5], v[4:5], v[182:183]
	v_dual_mov_b32 v183, v171 :: v_dual_mov_b32 v182, v170
	v_fma_f64 v[34:35], v[18:19], s[22:23], -v[32:33]
	s_delay_alu instid0(VALU_DEP_3) | instskip(NEXT) | instid1(VALU_DEP_2)
	v_add_f64 v[4:5], v[4:5], v[172:173]
	v_add_f64 v[22:23], v[34:35], v[22:23]
	v_mul_f64 v[34:35], v[68:69], s[14:15]
	s_delay_alu instid0(VALU_DEP_3) | instskip(NEXT) | instid1(VALU_DEP_2)
	v_add_f64 v[4:5], v[4:5], v[176:177]
	v_fma_f64 v[36:37], v[20:21], s[12:13], -v[34:35]
	s_delay_alu instid0(VALU_DEP_2) | instskip(NEXT) | instid1(VALU_DEP_2)
	v_add_f64 v[4:5], v[4:5], v[158:159]
	v_add_f64 v[22:23], v[36:37], v[22:23]
	v_mul_f64 v[36:37], v[70:71], s[28:29]
	s_delay_alu instid0(VALU_DEP_3) | instskip(NEXT) | instid1(VALU_DEP_2)
	v_add_f64 v[4:5], v[4:5], v[186:187]
	v_fma_f64 v[40:41], v[28:29], s[24:25], -v[36:37]
	s_delay_alu instid0(VALU_DEP_2) | instskip(NEXT) | instid1(VALU_DEP_2)
	;; [unrolled: 7-line block ×3, first 2 shown]
	v_add_f64 v[4:5], v[4:5], v[58:59]
	v_add_f64 v[22:23], v[42:43], v[22:23]
	s_delay_alu instid0(VALU_DEP_2) | instskip(NEXT) | instid1(VALU_DEP_1)
	v_add_f64 v[4:5], v[4:5], v[182:183]
	v_add_f64 v[4:5], v[4:5], v[10:11]
	ds_store_2addr_b64 v109, v[4:5], v[22:23] offset1:7
	v_fma_f64 v[4:5], v[6:7], s[2:3], v[24:25]
	v_fma_f64 v[6:7], v[14:15], s[10:11], v[26:27]
	s_delay_alu instid0(VALU_DEP_2) | instskip(SKIP_1) | instid1(VALU_DEP_2)
	v_add_f64 v[4:5], v[4:5], v[8:9]
	v_fma_f64 v[8:9], v[16:17], s[6:7], v[30:31]
	v_add_f64 v[4:5], v[6:7], v[4:5]
	v_fma_f64 v[6:7], v[18:19], s[22:23], v[32:33]
	s_delay_alu instid0(VALU_DEP_2) | instskip(SKIP_1) | instid1(VALU_DEP_2)
	v_add_f64 v[4:5], v[8:9], v[4:5]
	v_fma_f64 v[8:9], v[20:21], s[12:13], v[34:35]
	v_add_f64 v[4:5], v[6:7], v[4:5]
	;; [unrolled: 5-line block ×3, first 2 shown]
	s_delay_alu instid0(VALU_DEP_1)
	v_add_f64 v[4:5], v[8:9], v[4:5]
	ds_store_b64 v109, v[4:5] offset:896
	v_lshlrev_b32_e32 v4, 3, v127
	s_clause 0x2
	scratch_store_b64 off, v[176:177], off offset:336
	scratch_store_b64 off, v[158:159], off offset:412
	scratch_store_b32 off, v4, off offset:392
	s_and_saveexec_b32 s1, s0
	s_cbranch_execz .LBB0_16
; %bb.15:
	s_clause 0x3
	scratch_load_b64 v[4:5], off, off offset:48
	scratch_load_b64 v[6:7], off, off offset:288
	;; [unrolled: 1-line block ×4, first 2 shown]
	s_waitcnt vmcnt(2)
	v_add_f64 v[6:7], v[6:7], -v[4:5]
	s_waitcnt vmcnt(0)
	v_add_f64 v[4:5], v[166:167], v[168:169]
	s_delay_alu instid0(VALU_DEP_2) | instskip(SKIP_1) | instid1(VALU_DEP_2)
	v_mul_f64 v[8:9], v[6:7], s[28:29]
	v_mul_f64 v[24:25], v[6:7], s[14:15]
	v_fma_f64 v[14:15], v[4:5], s[24:25], -v[8:9]
	v_fma_f64 v[8:9], v[4:5], s[24:25], v[8:9]
	s_delay_alu instid0(VALU_DEP_2)
	v_add_f64 v[18:19], v[237:238], v[14:15]
	s_clause 0x3
	scratch_load_b64 v[14:15], off, off offset:56
	scratch_load_b64 v[16:17], off, off offset:256
	;; [unrolled: 1-line block ×4, first 2 shown]
	v_add_f64 v[8:9], v[237:238], v[8:9]
	s_waitcnt vmcnt(2)
	v_add_f64 v[16:17], v[16:17], -v[14:15]
	s_waitcnt vmcnt(0)
	v_add_f64 v[14:15], v[142:143], v[164:165]
	s_delay_alu instid0(VALU_DEP_2) | instskip(SKIP_2) | instid1(VALU_DEP_3)
	v_mul_f64 v[20:21], v[16:17], s[38:39]
	v_mul_f64 v[26:27], v[16:17], s[44:45]
	;; [unrolled: 1-line block ×3, first 2 shown]
	v_fma_f64 v[22:23], v[14:15], s[10:11], -v[20:21]
	s_delay_alu instid0(VALU_DEP_3) | instskip(SKIP_1) | instid1(VALU_DEP_4)
	v_fma_f64 v[28:29], v[14:15], s[22:23], -v[26:27]
	v_fma_f64 v[20:21], v[14:15], s[10:11], v[20:21]
	v_fma_f64 v[92:93], v[14:15], s[6:7], v[90:91]
	s_delay_alu instid0(VALU_DEP_4) | instskip(SKIP_1) | instid1(VALU_DEP_4)
	v_add_f64 v[22:23], v[22:23], v[18:19]
	v_fma_f64 v[18:19], v[4:5], s[12:13], -v[24:25]
	v_add_f64 v[8:9], v[20:21], v[8:9]
	v_fma_f64 v[20:21], v[4:5], s[12:13], v[24:25]
	s_delay_alu instid0(VALU_DEP_3) | instskip(NEXT) | instid1(VALU_DEP_2)
	v_add_f64 v[18:19], v[237:238], v[18:19]
	v_add_f64 v[20:21], v[237:238], v[20:21]
	s_delay_alu instid0(VALU_DEP_2)
	v_add_f64 v[28:29], v[28:29], v[18:19]
	s_clause 0x3
	scratch_load_b64 v[18:19], off, off offset:64
	scratch_load_b64 v[30:31], off, off offset:240
	scratch_load_b64 v[138:139], off, off offset:224
	scratch_load_b64 v[162:163], off, off offset:264
	s_waitcnt vmcnt(2)
	v_add_f64 v[30:31], v[30:31], -v[18:19]
	s_waitcnt vmcnt(0)
	v_add_f64 v[18:19], v[138:139], v[162:163]
	s_delay_alu instid0(VALU_DEP_2) | instskip(NEXT) | instid1(VALU_DEP_1)
	v_mul_f64 v[32:33], v[30:31], s[16:17]
	v_fma_f64 v[34:35], v[18:19], s[6:7], -v[32:33]
	s_delay_alu instid0(VALU_DEP_1) | instskip(SKIP_1) | instid1(VALU_DEP_1)
	v_add_f64 v[22:23], v[34:35], v[22:23]
	v_mul_f64 v[34:35], v[30:31], s[42:43]
	v_fma_f64 v[36:37], v[18:19], s[36:37], -v[34:35]
	s_delay_alu instid0(VALU_DEP_1)
	v_add_f64 v[28:29], v[36:37], v[28:29]
	s_clause 0x3
	scratch_load_b64 v[36:37], off, off offset:72
	scratch_load_b64 v[38:39], off, off offset:216
	scratch_load_b64 v[136:137], off, off offset:208
	scratch_load_b64 v[140:141], off, off offset:232
	s_waitcnt vmcnt(2)
	v_add_f64 v[36:37], v[38:39], -v[36:37]
	s_waitcnt vmcnt(0)
	v_add_f64 v[38:39], v[136:137], v[140:141]
	s_delay_alu instid0(VALU_DEP_2) | instskip(NEXT) | instid1(VALU_DEP_1)
	v_mul_f64 v[40:41], v[36:37], s[54:55]
	v_fma_f64 v[42:43], v[38:39], s[12:13], -v[40:41]
	s_delay_alu instid0(VALU_DEP_1) | instskip(SKIP_1) | instid1(VALU_DEP_1)
	v_add_f64 v[22:23], v[42:43], v[22:23]
	v_mul_f64 v[42:43], v[36:37], s[28:29]
	v_fma_f64 v[44:45], v[38:39], s[24:25], -v[42:43]
	s_delay_alu instid0(VALU_DEP_1)
	;; [unrolled: 18-line block ×3, first 2 shown]
	v_add_f64 v[28:29], v[52:53], v[28:29]
	s_clause 0x3
	scratch_load_b64 v[52:53], off, off offset:88
	scratch_load_b64 v[54:55], off, off offset:168
	;; [unrolled: 1-line block ×4, first 2 shown]
	s_waitcnt vmcnt(2)
	v_add_f64 v[52:53], v[54:55], -v[52:53]
	s_clause 0x1
	scratch_load_b64 v[54:55], off, off offset:96
	scratch_load_b64 v[56:57], off, off offset:120
	s_waitcnt vmcnt(2)
	v_add_f64 v[60:61], v[126:127], v[130:131]
	s_clause 0x1
	scratch_load_b64 v[122:123], off, off offset:144
	scratch_load_b64 v[124:125], off, off offset:152
	v_mul_f64 v[64:65], v[52:53], s[20:21]
	s_delay_alu instid0(VALU_DEP_1) | instskip(NEXT) | instid1(VALU_DEP_1)
	v_fma_f64 v[66:67], v[60:61], s[18:19], -v[64:65]
	v_add_f64 v[22:23], v[66:67], v[22:23]
	v_mul_f64 v[66:67], v[52:53], s[30:31]
	s_delay_alu instid0(VALU_DEP_1) | instskip(NEXT) | instid1(VALU_DEP_1)
	v_fma_f64 v[68:69], v[60:61], s[2:3], -v[66:67]
	v_add_f64 v[28:29], v[68:69], v[28:29]
	s_waitcnt vmcnt(2)
	v_add_f64 v[68:69], v[56:57], -v[54:55]
	s_clause 0x1
	scratch_load_b64 v[54:55], off, off offset:104
	scratch_load_b64 v[56:57], off, off offset:112
	s_waitcnt vmcnt(2)
	v_add_f64 v[70:71], v[122:123], v[124:125]
	v_mul_f64 v[72:73], v[68:69], s[34:35]
	s_delay_alu instid0(VALU_DEP_1) | instskip(NEXT) | instid1(VALU_DEP_1)
	v_fma_f64 v[74:75], v[70:71], s[2:3], -v[72:73]
	v_add_f64 v[22:23], v[74:75], v[22:23]
	v_mul_f64 v[74:75], v[68:69], s[20:21]
	s_delay_alu instid0(VALU_DEP_1) | instskip(NEXT) | instid1(VALU_DEP_1)
	v_fma_f64 v[76:77], v[70:71], s[18:19], -v[74:75]
	v_add_f64 v[28:29], v[76:77], v[28:29]
	s_waitcnt vmcnt(0)
	v_add_f64 v[76:77], v[56:57], -v[54:55]
	s_clause 0x3
	scratch_load_b64 v[56:57], off, off offset:128
	scratch_load_b64 v[120:121], off, off offset:136
	scratch_load_b32 v54, off, off
	scratch_load_b32 v55, off, off offset:392
	v_mul_f64 v[80:81], v[76:77], s[26:27]
	s_waitcnt vmcnt(2)
	v_add_f64 v[78:79], v[56:57], v[120:121]
	s_waitcnt vmcnt(0)
	v_add3_u32 v54, 0, v55, v54
	s_delay_alu instid0(VALU_DEP_1) | instskip(NEXT) | instid1(VALU_DEP_3)
	v_add_nc_u32_e32 v55, 0x1000, v54
	v_fma_f64 v[82:83], v[78:79], s[22:23], -v[80:81]
	s_delay_alu instid0(VALU_DEP_1) | instskip(SKIP_1) | instid1(VALU_DEP_1)
	v_add_f64 v[22:23], v[82:83], v[22:23]
	v_mul_f64 v[82:83], v[76:77], s[38:39]
	v_fma_f64 v[84:85], v[78:79], s[10:11], -v[82:83]
	s_delay_alu instid0(VALU_DEP_1)
	v_add_f64 v[28:29], v[84:85], v[28:29]
	v_mul_f64 v[84:85], v[16:17], s[40:41]
	ds_store_2addr_b64 v55, v[28:29], v[22:23] offset0:6 offset1:13
	v_mul_f64 v[22:23], v[6:7], s[20:21]
	v_fma_f64 v[86:87], v[14:15], s[36:37], v[84:85]
	v_fma_f64 v[84:85], v[14:15], s[36:37], -v[84:85]
	s_delay_alu instid0(VALU_DEP_3) | instskip(SKIP_1) | instid1(VALU_DEP_2)
	v_fma_f64 v[28:29], v[4:5], s[18:19], v[22:23]
	v_fma_f64 v[22:23], v[4:5], s[18:19], -v[22:23]
	v_add_f64 v[28:29], v[237:238], v[28:29]
	s_delay_alu instid0(VALU_DEP_2) | instskip(NEXT) | instid1(VALU_DEP_2)
	v_add_f64 v[22:23], v[237:238], v[22:23]
	v_add_f64 v[28:29], v[86:87], v[28:29]
	s_delay_alu instid0(VALU_DEP_2) | instskip(SKIP_1) | instid1(VALU_DEP_1)
	v_add_f64 v[22:23], v[84:85], v[22:23]
	v_mul_f64 v[84:85], v[30:31], s[28:29]
	v_fma_f64 v[86:87], v[18:19], s[24:25], v[84:85]
	v_fma_f64 v[84:85], v[18:19], s[24:25], -v[84:85]
	s_delay_alu instid0(VALU_DEP_2) | instskip(NEXT) | instid1(VALU_DEP_2)
	v_add_f64 v[28:29], v[86:87], v[28:29]
	v_add_f64 v[22:23], v[84:85], v[22:23]
	v_mul_f64 v[84:85], v[36:37], s[34:35]
	s_delay_alu instid0(VALU_DEP_1) | instskip(SKIP_1) | instid1(VALU_DEP_2)
	v_fma_f64 v[86:87], v[38:39], s[2:3], v[84:85]
	v_fma_f64 v[84:85], v[38:39], s[2:3], -v[84:85]
	v_add_f64 v[28:29], v[86:87], v[28:29]
	s_delay_alu instid0(VALU_DEP_2) | instskip(SKIP_1) | instid1(VALU_DEP_1)
	v_add_f64 v[22:23], v[84:85], v[22:23]
	v_mul_f64 v[84:85], v[44:45], s[14:15]
	v_fma_f64 v[86:87], v[46:47], s[12:13], v[84:85]
	v_fma_f64 v[84:85], v[46:47], s[12:13], -v[84:85]
	s_delay_alu instid0(VALU_DEP_2) | instskip(NEXT) | instid1(VALU_DEP_2)
	v_add_f64 v[28:29], v[86:87], v[28:29]
	v_add_f64 v[22:23], v[84:85], v[22:23]
	v_mul_f64 v[84:85], v[52:53], s[38:39]
	s_delay_alu instid0(VALU_DEP_1) | instskip(SKIP_1) | instid1(VALU_DEP_2)
	v_fma_f64 v[86:87], v[60:61], s[10:11], v[84:85]
	v_fma_f64 v[84:85], v[60:61], s[10:11], -v[84:85]
	;; [unrolled: 13-line block ×3, first 2 shown]
	v_add_f64 v[28:29], v[86:87], v[28:29]
	s_delay_alu instid0(VALU_DEP_2) | instskip(SKIP_3) | instid1(VALU_DEP_2)
	v_add_f64 v[22:23], v[84:85], v[22:23]
	ds_store_2addr_b64 v55, v[22:23], v[28:29] offset0:20 offset1:27
	v_fma_f64 v[22:23], v[14:15], s[22:23], v[26:27]
	v_mul_f64 v[28:29], v[16:17], s[20:21]
	v_add_f64 v[20:21], v[22:23], v[20:21]
	v_fma_f64 v[22:23], v[18:19], s[6:7], v[32:33]
	s_delay_alu instid0(VALU_DEP_3) | instskip(NEXT) | instid1(VALU_DEP_2)
	v_fma_f64 v[32:33], v[14:15], s[18:19], v[28:29]
	v_add_f64 v[8:9], v[22:23], v[8:9]
	v_fma_f64 v[22:23], v[18:19], s[36:37], v[34:35]
	s_delay_alu instid0(VALU_DEP_1) | instskip(SKIP_1) | instid1(VALU_DEP_1)
	v_add_f64 v[20:21], v[22:23], v[20:21]
	v_fma_f64 v[22:23], v[38:39], s[12:13], v[40:41]
	v_add_f64 v[8:9], v[22:23], v[8:9]
	v_fma_f64 v[22:23], v[38:39], s[24:25], v[42:43]
	s_delay_alu instid0(VALU_DEP_1) | instskip(SKIP_1) | instid1(VALU_DEP_1)
	v_add_f64 v[20:21], v[22:23], v[20:21]
	;; [unrolled: 5-line block ×5, first 2 shown]
	v_fma_f64 v[22:23], v[78:79], s[22:23], v[80:81]
	v_add_f64 v[8:9], v[22:23], v[8:9]
	v_fma_f64 v[22:23], v[78:79], s[10:11], v[82:83]
	s_delay_alu instid0(VALU_DEP_1) | instskip(SKIP_4) | instid1(VALU_DEP_2)
	v_add_f64 v[20:21], v[22:23], v[20:21]
	v_mul_f64 v[22:23], v[16:17], s[52:53]
	ds_store_2addr_b64 v55, v[8:9], v[20:21] offset0:34 offset1:41
	v_mul_f64 v[8:9], v[6:7], s[26:27]
	v_fma_f64 v[24:25], v[14:15], s[24:25], v[22:23]
	v_fma_f64 v[20:21], v[4:5], s[22:23], v[8:9]
	v_fma_f64 v[8:9], v[4:5], s[22:23], -v[8:9]
	s_delay_alu instid0(VALU_DEP_2) | instskip(NEXT) | instid1(VALU_DEP_2)
	v_add_f64 v[20:21], v[237:238], v[20:21]
	v_add_f64 v[8:9], v[237:238], v[8:9]
	s_delay_alu instid0(VALU_DEP_2) | instskip(SKIP_1) | instid1(VALU_DEP_1)
	v_add_f64 v[20:21], v[24:25], v[20:21]
	v_mul_f64 v[24:25], v[6:7], s[16:17]
	v_fma_f64 v[26:27], v[4:5], s[6:7], v[24:25]
	s_delay_alu instid0(VALU_DEP_1) | instskip(NEXT) | instid1(VALU_DEP_1)
	v_add_f64 v[26:27], v[237:238], v[26:27]
	v_add_f64 v[26:27], v[32:33], v[26:27]
	v_mul_f64 v[32:33], v[30:31], s[34:35]
	s_delay_alu instid0(VALU_DEP_1) | instskip(NEXT) | instid1(VALU_DEP_1)
	v_fma_f64 v[34:35], v[18:19], s[2:3], v[32:33]
	v_add_f64 v[20:21], v[34:35], v[20:21]
	v_mul_f64 v[34:35], v[30:31], s[44:45]
	s_delay_alu instid0(VALU_DEP_1) | instskip(NEXT) | instid1(VALU_DEP_1)
	v_fma_f64 v[40:41], v[18:19], s[22:23], v[34:35]
	v_add_f64 v[26:27], v[40:41], v[26:27]
	v_mul_f64 v[40:41], v[36:37], s[46:47]
	s_delay_alu instid0(VALU_DEP_1) | instskip(NEXT) | instid1(VALU_DEP_1)
	v_fma_f64 v[42:43], v[38:39], s[10:11], v[40:41]
	v_add_f64 v[20:21], v[42:43], v[20:21]
	v_mul_f64 v[42:43], v[36:37], s[40:41]
	s_delay_alu instid0(VALU_DEP_1) | instskip(NEXT) | instid1(VALU_DEP_1)
	v_fma_f64 v[48:49], v[38:39], s[36:37], v[42:43]
	v_add_f64 v[26:27], v[48:49], v[26:27]
	v_mul_f64 v[48:49], v[44:45], s[20:21]
	s_delay_alu instid0(VALU_DEP_1) | instskip(NEXT) | instid1(VALU_DEP_1)
	v_fma_f64 v[50:51], v[46:47], s[18:19], v[48:49]
	v_add_f64 v[20:21], v[50:51], v[20:21]
	v_mul_f64 v[50:51], v[44:45], s[46:47]
	s_delay_alu instid0(VALU_DEP_1) | instskip(NEXT) | instid1(VALU_DEP_1)
	v_fma_f64 v[64:65], v[46:47], s[10:11], v[50:51]
	v_add_f64 v[26:27], v[64:65], v[26:27]
	v_mul_f64 v[64:65], v[52:53], s[50:51]
	s_delay_alu instid0(VALU_DEP_1) | instskip(NEXT) | instid1(VALU_DEP_1)
	v_fma_f64 v[66:67], v[60:61], s[6:7], v[64:65]
	v_add_f64 v[20:21], v[66:67], v[20:21]
	v_mul_f64 v[66:67], v[52:53], s[28:29]
	s_delay_alu instid0(VALU_DEP_1) | instskip(NEXT) | instid1(VALU_DEP_1)
	v_fma_f64 v[72:73], v[60:61], s[24:25], v[66:67]
	v_add_f64 v[26:27], v[72:73], v[26:27]
	v_mul_f64 v[72:73], v[68:69], s[42:43]
	s_delay_alu instid0(VALU_DEP_1) | instskip(NEXT) | instid1(VALU_DEP_1)
	v_fma_f64 v[74:75], v[70:71], s[36:37], v[72:73]
	v_add_f64 v[20:21], v[74:75], v[20:21]
	v_mul_f64 v[74:75], v[68:69], s[54:55]
	s_delay_alu instid0(VALU_DEP_1) | instskip(NEXT) | instid1(VALU_DEP_1)
	v_fma_f64 v[80:81], v[70:71], s[12:13], v[74:75]
	v_add_f64 v[26:27], v[80:81], v[26:27]
	v_mul_f64 v[80:81], v[76:77], s[14:15]
	s_delay_alu instid0(VALU_DEP_1) | instskip(NEXT) | instid1(VALU_DEP_1)
	v_fma_f64 v[82:83], v[78:79], s[12:13], v[80:81]
	v_add_f64 v[20:21], v[82:83], v[20:21]
	v_mul_f64 v[82:83], v[76:77], s[34:35]
	s_delay_alu instid0(VALU_DEP_1) | instskip(NEXT) | instid1(VALU_DEP_1)
	v_fma_f64 v[84:85], v[78:79], s[2:3], v[82:83]
	v_add_f64 v[26:27], v[84:85], v[26:27]
	v_mul_f64 v[84:85], v[16:17], s[14:15]
	ds_store_2addr_b64 v55, v[20:21], v[26:27] offset0:48 offset1:55
	v_mul_f64 v[20:21], v[6:7], s[46:47]
	v_fma_f64 v[86:87], v[14:15], s[12:13], v[84:85]
	s_delay_alu instid0(VALU_DEP_2) | instskip(SKIP_1) | instid1(VALU_DEP_2)
	v_fma_f64 v[26:27], v[4:5], s[10:11], v[20:21]
	v_fma_f64 v[20:21], v[4:5], s[10:11], -v[20:21]
	v_add_f64 v[26:27], v[237:238], v[26:27]
	s_delay_alu instid0(VALU_DEP_2) | instskip(NEXT) | instid1(VALU_DEP_2)
	v_add_f64 v[20:21], v[237:238], v[20:21]
	v_add_f64 v[26:27], v[86:87], v[26:27]
	v_mul_f64 v[86:87], v[6:7], s[30:31]
	v_mul_f64 v[6:7], v[6:7], s[42:43]
	s_delay_alu instid0(VALU_DEP_2) | instskip(NEXT) | instid1(VALU_DEP_1)
	v_fma_f64 v[88:89], v[4:5], s[2:3], v[86:87]
	v_add_f64 v[88:89], v[237:238], v[88:89]
	s_delay_alu instid0(VALU_DEP_1) | instskip(SKIP_1) | instid1(VALU_DEP_1)
	v_add_f64 v[88:89], v[92:93], v[88:89]
	v_mul_f64 v[92:93], v[30:31], s[48:49]
	v_fma_f64 v[94:95], v[18:19], s[18:19], v[92:93]
	s_delay_alu instid0(VALU_DEP_1) | instskip(SKIP_1) | instid1(VALU_DEP_1)
	v_add_f64 v[26:27], v[94:95], v[26:27]
	v_mul_f64 v[94:95], v[30:31], s[14:15]
	v_fma_f64 v[96:97], v[18:19], s[12:13], v[94:95]
	;; [unrolled: 4-line block ×12, first 2 shown]
	s_delay_alu instid0(VALU_DEP_1) | instskip(SKIP_4) | instid1(VALU_DEP_3)
	v_add_f64 v[88:89], v[118:119], v[88:89]
	ds_store_2addr_b64 v55, v[26:27], v[88:89] offset0:62 offset1:69
	v_fma_f64 v[26:27], v[14:15], s[12:13], -v[84:85]
	v_fma_f64 v[84:85], v[14:15], s[6:7], -v[90:91]
	v_add_nc_u32_e32 v55, 0x800, v54
	v_add_f64 v[20:21], v[26:27], v[20:21]
	v_fma_f64 v[26:27], v[4:5], s[2:3], -v[86:87]
	s_delay_alu instid0(VALU_DEP_1) | instskip(NEXT) | instid1(VALU_DEP_1)
	v_add_f64 v[26:27], v[237:238], v[26:27]
	v_add_f64 v[26:27], v[84:85], v[26:27]
	v_fma_f64 v[84:85], v[18:19], s[18:19], -v[92:93]
	s_delay_alu instid0(VALU_DEP_1) | instskip(SKIP_1) | instid1(VALU_DEP_1)
	v_add_f64 v[20:21], v[84:85], v[20:21]
	v_fma_f64 v[84:85], v[18:19], s[12:13], -v[94:95]
	v_add_f64 v[26:27], v[84:85], v[26:27]
	v_fma_f64 v[84:85], v[38:39], s[22:23], -v[96:97]
	s_delay_alu instid0(VALU_DEP_1) | instskip(SKIP_1) | instid1(VALU_DEP_1)
	v_add_f64 v[20:21], v[84:85], v[20:21]
	v_fma_f64 v[84:85], v[38:39], s[18:19], -v[98:99]
	;; [unrolled: 5-line block ×6, first 2 shown]
	v_add_f64 v[26:27], v[84:85], v[26:27]
	ds_store_2addr_b64 v55, v[26:27], v[20:21] offset0:234 offset1:241
	v_fma_f64 v[20:21], v[14:15], s[24:25], -v[22:23]
	v_fma_f64 v[22:23], v[14:15], s[18:19], -v[28:29]
	s_delay_alu instid0(VALU_DEP_2) | instskip(SKIP_1) | instid1(VALU_DEP_1)
	v_add_f64 v[8:9], v[20:21], v[8:9]
	v_fma_f64 v[20:21], v[4:5], s[6:7], -v[24:25]
	v_add_f64 v[20:21], v[237:238], v[20:21]
	s_delay_alu instid0(VALU_DEP_1) | instskip(SKIP_1) | instid1(VALU_DEP_1)
	v_add_f64 v[20:21], v[22:23], v[20:21]
	v_fma_f64 v[22:23], v[18:19], s[2:3], -v[32:33]
	v_add_f64 v[8:9], v[22:23], v[8:9]
	v_fma_f64 v[22:23], v[18:19], s[22:23], -v[34:35]
	s_delay_alu instid0(VALU_DEP_1) | instskip(SKIP_1) | instid1(VALU_DEP_1)
	v_add_f64 v[20:21], v[22:23], v[20:21]
	v_fma_f64 v[22:23], v[38:39], s[10:11], -v[40:41]
	v_add_f64 v[8:9], v[22:23], v[8:9]
	v_fma_f64 v[22:23], v[38:39], s[36:37], -v[42:43]
	;; [unrolled: 5-line block ×6, first 2 shown]
	s_delay_alu instid0(VALU_DEP_1) | instskip(SKIP_4) | instid1(VALU_DEP_3)
	v_add_f64 v[20:21], v[22:23], v[20:21]
	ds_store_2addr_b64 v55, v[20:21], v[8:9] offset0:248 offset1:255
	v_mul_f64 v[8:9], v[16:17], s[30:31]
	v_fma_f64 v[16:17], v[4:5], s[36:37], -v[6:7]
	v_fma_f64 v[4:5], v[4:5], s[36:37], v[6:7]
	v_fma_f64 v[20:21], v[14:15], s[2:3], -v[8:9]
	s_delay_alu instid0(VALU_DEP_3) | instskip(SKIP_1) | instid1(VALU_DEP_4)
	v_add_f64 v[16:17], v[237:238], v[16:17]
	v_fma_f64 v[6:7], v[14:15], s[2:3], v[8:9]
	v_add_f64 v[4:5], v[237:238], v[4:5]
	s_delay_alu instid0(VALU_DEP_3) | instskip(SKIP_1) | instid1(VALU_DEP_3)
	v_add_f64 v[16:17], v[20:21], v[16:17]
	v_mul_f64 v[20:21], v[30:31], s[46:47]
	v_add_f64 v[4:5], v[6:7], v[4:5]
	s_delay_alu instid0(VALU_DEP_2) | instskip(SKIP_1) | instid1(VALU_DEP_2)
	v_fma_f64 v[22:23], v[18:19], s[10:11], -v[20:21]
	v_fma_f64 v[8:9], v[18:19], s[10:11], v[20:21]
	v_add_f64 v[16:17], v[22:23], v[16:17]
	v_mul_f64 v[22:23], v[36:37], s[16:17]
	s_delay_alu instid0(VALU_DEP_3) | instskip(NEXT) | instid1(VALU_DEP_2)
	v_add_f64 v[4:5], v[8:9], v[4:5]
	v_fma_f64 v[24:25], v[38:39], s[6:7], -v[22:23]
	v_fma_f64 v[6:7], v[38:39], s[6:7], v[22:23]
	s_delay_alu instid0(VALU_DEP_2) | instskip(SKIP_1) | instid1(VALU_DEP_3)
	v_add_f64 v[16:17], v[24:25], v[16:17]
	v_mul_f64 v[24:25], v[44:45], s[26:27]
	v_add_f64 v[4:5], v[6:7], v[4:5]
	s_delay_alu instid0(VALU_DEP_2) | instskip(SKIP_1) | instid1(VALU_DEP_2)
	v_fma_f64 v[26:27], v[46:47], s[22:23], -v[24:25]
	v_fma_f64 v[8:9], v[46:47], s[22:23], v[24:25]
	v_add_f64 v[16:17], v[26:27], v[16:17]
	v_mul_f64 v[26:27], v[52:53], s[14:15]
	s_delay_alu instid0(VALU_DEP_3) | instskip(NEXT) | instid1(VALU_DEP_2)
	v_add_f64 v[4:5], v[8:9], v[4:5]
	v_fma_f64 v[28:29], v[60:61], s[12:13], -v[26:27]
	v_fma_f64 v[6:7], v[60:61], s[12:13], v[26:27]
	s_delay_alu instid0(VALU_DEP_2) | instskip(SKIP_1) | instid1(VALU_DEP_3)
	;; [unrolled: 13-line block ×3, first 2 shown]
	v_add_f64 v[16:17], v[32:33], v[16:17]
	v_add_f64 v[32:33], v[237:238], v[166:167]
	;; [unrolled: 1-line block ×3, first 2 shown]
	s_delay_alu instid0(VALU_DEP_2) | instskip(SKIP_2) | instid1(VALU_DEP_1)
	v_add_f64 v[32:33], v[32:33], v[142:143]
	ds_store_b64 v54, v[4:5] offset:4704
	v_add_f64 v[32:33], v[32:33], v[138:139]
	v_add_f64 v[32:33], v[32:33], v[136:137]
	s_delay_alu instid0(VALU_DEP_1) | instskip(NEXT) | instid1(VALU_DEP_1)
	v_add_f64 v[32:33], v[32:33], v[132:133]
	v_add_f64 v[32:33], v[32:33], v[126:127]
	s_delay_alu instid0(VALU_DEP_1) | instskip(NEXT) | instid1(VALU_DEP_1)
	;; [unrolled: 3-line block ×6, first 2 shown]
	v_add_f64 v[32:33], v[32:33], v[164:165]
	v_add_f64 v[32:33], v[32:33], v[168:169]
	ds_store_2addr_b64 v55, v[32:33], v[16:17] offset0:220 offset1:227
.LBB0_16:
	s_or_b32 exec_lo, exec_lo, s1
	v_add_f64 v[18:19], v[2:3], -v[241:242]
	scratch_load_b64 v[2:3], off, off offset:28 ; 8-byte Folded Reload
	v_add_f64 v[8:9], v[196:197], v[12:13]
	v_add_f64 v[20:21], v[222:223], -v[232:233]
	v_add_f64 v[30:31], v[228:229], -v[160:161]
	;; [unrolled: 1-line block ×6, first 2 shown]
	v_dual_mov_b32 v146, v251 :: v_dual_mov_b32 v147, v252
	v_mul_f64 v[34:35], v[18:19], s[30:31]
	v_mul_f64 v[36:37], v[18:19], s[46:47]
	v_mul_f64 v[44:45], v[18:19], s[14:15]
	v_mul_f64 v[46:47], v[18:19], s[28:29]
	v_mul_f64 v[48:49], v[18:19], s[20:21]
	v_mul_f64 v[50:51], v[20:21], s[30:31]
	v_mul_f64 v[52:53], v[20:21], s[16:17]
	v_mul_f64 v[60:61], v[20:21], s[14:15]
	v_mul_f64 v[64:65], v[20:21], s[20:21]
	v_mul_f64 v[66:67], v[20:21], s[52:53]
	v_mul_f64 v[74:75], v[20:21], s[44:45]
	v_mul_f64 v[76:77], v[20:21], s[38:39]
	v_mul_f64 v[20:21], v[20:21], s[40:41]
	v_mul_f64 v[106:107], v[30:31], s[26:27]
	v_mul_f64 v[110:111], v[30:31], s[52:53]
	v_mul_f64 v[112:113], v[30:31], s[34:35]
	v_mul_f64 v[114:115], v[30:31], s[46:47]
	v_mul_f64 v[118:119], v[30:31], s[20:21]
	v_mul_f64 v[120:121], v[30:31], s[50:51]
	v_mul_f64 v[124:125], v[30:31], s[42:43]
	v_mul_f64 v[70:71], v[30:31], s[14:15]
	v_mul_f64 v[78:79], v[22:23], s[46:47]
	v_mul_f64 v[80:81], v[22:23], s[14:15]
	v_mul_f64 v[82:83], v[22:23], s[48:49]
	v_mul_f64 v[84:85], v[22:23], s[44:45]
	v_mul_f64 v[86:87], v[22:23], s[34:35]
	v_mul_f64 v[88:89], v[22:23], s[42:43]
	v_mul_f64 v[90:91], v[22:23], s[16:17]
	v_mul_f64 v[22:23], v[22:23], s[28:29]
	v_mul_f64 v[32:33], v[18:19], s[42:43]
	v_mul_f64 v[38:39], v[18:19], s[16:17]
	v_mul_f64 v[40:41], v[18:19], s[26:27]
	v_mul_f64 v[72:73], v[4:5], s[14:15]
	v_mul_f64 v[68:69], v[4:5], s[42:43]
	v_mul_f64 v[18:19], v[4:5], s[28:29]
	v_mul_f64 v[92:93], v[24:25], s[16:17]
	v_mul_f64 v[94:95], v[24:25], s[20:21]
	v_mul_f64 v[96:97], v[24:25], s[44:45]
	v_mul_f64 v[98:99], v[24:25], s[40:41]
	v_mul_f64 v[100:101], v[24:25], s[46:47]
	v_mul_f64 v[102:103], v[24:25], s[28:29]
	v_mul_f64 v[104:105], v[24:25], s[54:55]
	v_mul_f64 v[24:25], v[24:25], s[34:35]
	v_mul_f64 v[166:167], v[10:11], s[42:43]
	v_mul_f64 v[170:171], v[10:11], s[30:31]
	s_waitcnt vmcnt(0)
	v_add_f64 v[12:13], v[12:13], v[2:3]
	s_clause 0x1
	scratch_load_b64 v[16:17], off, off offset:548
	scratch_load_b64 v[2:3], off, off offset:4
	v_fma_f64 v[122:123], v[12:13], s[2:3], v[34:35]
	v_fma_f64 v[30:31], v[12:13], s[10:11], v[36:37]
	v_fma_f64 v[36:37], v[12:13], s[10:11], -v[36:37]
	v_fma_f64 v[134:135], v[12:13], s[12:13], v[44:45]
	v_fma_f64 v[44:45], v[12:13], s[12:13], -v[44:45]
	;; [unrolled: 2-line block ×3, first 2 shown]
	v_fma_f64 v[138:139], v[12:13], s[18:19], v[48:49]
	v_fma_f64 v[116:117], v[12:13], s[36:37], v[32:33]
	v_fma_f64 v[32:33], v[12:13], s[36:37], -v[32:33]
	v_fma_f64 v[34:35], v[12:13], s[2:3], -v[34:35]
	v_fma_f64 v[130:131], v[12:13], s[6:7], v[38:39]
	v_fma_f64 v[38:39], v[12:13], s[6:7], -v[38:39]
	v_fma_f64 v[132:133], v[12:13], s[22:23], v[40:41]
	v_fma_f64 v[40:41], v[12:13], s[22:23], -v[40:41]
	v_fma_f64 v[12:13], v[12:13], s[18:19], -v[48:49]
	v_add_f64 v[122:123], v[196:197], v[122:123]
	v_add_f64 v[30:31], v[196:197], v[30:31]
	;; [unrolled: 1-line block ×15, first 2 shown]
	s_waitcnt vmcnt(1)
	v_add_f64 v[8:9], v[8:9], v[16:17]
	s_waitcnt vmcnt(0)
	v_add_f64 v[26:27], v[16:17], v[2:3]
	s_clause 0x1
	scratch_load_b64 v[42:43], off, off offset:540
	scratch_load_b64 v[2:3], off, off offset:12
	v_add_f64 v[16:17], v[146:147], v[204:205]
	v_fma_f64 v[140:141], v[26:27], s[6:7], v[52:53]
	v_fma_f64 v[142:143], v[26:27], s[12:13], v[60:61]
	v_fma_f64 v[60:61], v[26:27], s[12:13], -v[60:61]
	v_fma_f64 v[164:165], v[26:27], s[22:23], v[74:75]
	v_fma_f64 v[74:75], v[26:27], s[22:23], -v[74:75]
	;; [unrolled: 2-line block ×3, first 2 shown]
	v_fma_f64 v[210:211], v[26:27], s[36:37], v[20:21]
	v_fma_f64 v[48:49], v[26:27], s[2:3], v[50:51]
	v_fma_f64 v[50:51], v[26:27], s[2:3], -v[50:51]
	v_fma_f64 v[52:53], v[26:27], s[6:7], -v[52:53]
	v_fma_f64 v[156:157], v[26:27], s[18:19], v[64:65]
	v_fma_f64 v[64:65], v[26:27], s[18:19], -v[64:65]
	v_fma_f64 v[162:163], v[26:27], s[24:25], v[66:67]
	v_fma_f64 v[66:67], v[26:27], s[24:25], -v[66:67]
	v_fma_f64 v[20:21], v[26:27], s[36:37], -v[20:21]
	v_add_f64 v[26:27], v[196:197], v[34:35]
	v_add_f64 v[30:31], v[142:143], v[30:31]
	;; [unrolled: 1-line block ×8, first 2 shown]
	v_mul_f64 v[50:51], v[10:11], s[16:17]
	v_add_f64 v[130:131], v[156:157], v[130:131]
	v_add_f64 v[38:39], v[64:65], v[38:39]
	;; [unrolled: 1-line block ×6, first 2 shown]
	v_mul_f64 v[52:53], v[10:11], s[14:15]
	v_add_f64 v[66:67], v[66:67], v[40:41]
	s_waitcnt vmcnt(1)
	v_add_f64 v[8:9], v[8:9], v[42:43]
	s_waitcnt vmcnt(0)
	v_add_f64 v[28:29], v[42:43], v[2:3]
	s_clause 0x5
	scratch_load_b64 v[54:55], off, off offset:532
	scratch_load_b64 v[2:3], off, off offset:20
	;; [unrolled: 1-line block ×6, first 2 shown]
	v_mul_f64 v[42:43], v[4:5], s[44:45]
	v_fma_f64 v[220:221], v[28:29], s[12:13], v[80:81]
	v_fma_f64 v[222:223], v[28:29], s[18:19], v[82:83]
	v_fma_f64 v[82:83], v[28:29], s[18:19], -v[82:83]
	v_fma_f64 v[237:238], v[28:29], s[22:23], v[84:85]
	v_fma_f64 v[239:240], v[28:29], s[22:23], -v[84:85]
	v_fma_f64 v[168:169], v[28:29], s[36:37], -v[88:89]
	v_fma_f64 v[56:57], v[28:29], s[6:7], v[90:91]
	v_fma_f64 v[90:91], v[28:29], s[6:7], -v[90:91]
	v_add_f64 v[84:85], v[140:141], v[122:123]
	v_fma_f64 v[126:127], v[28:29], s[36:37], v[88:89]
	v_fma_f64 v[34:35], v[28:29], s[10:11], v[78:79]
	v_fma_f64 v[78:79], v[28:29], s[10:11], -v[78:79]
	v_fma_f64 v[80:81], v[28:29], s[12:13], -v[80:81]
	v_fma_f64 v[251:252], v[28:29], s[2:3], v[86:87]
	v_fma_f64 v[253:254], v[28:29], s[2:3], -v[86:87]
	v_mul_f64 v[122:123], v[10:11], s[28:29]
	v_mul_f64 v[140:141], v[10:11], s[20:21]
	v_add_f64 v[245:246], v[82:83], v[36:37]
	v_mul_f64 v[36:37], v[4:5], s[50:51]
	v_add_f64 v[247:248], v[237:238], v[130:131]
	v_add_f64 v[82:83], v[168:169], v[44:45]
	v_mul_f64 v[44:45], v[4:5], s[30:31]
	v_add_f64 v[237:238], v[56:57], v[74:75]
	v_add_f64 v[88:89], v[220:221], v[84:85]
	;; [unrolled: 1-line block ×4, first 2 shown]
	v_mul_f64 v[46:47], v[4:5], s[20:21]
	v_add_f64 v[32:33], v[78:79], v[32:33]
	v_add_f64 v[86:87], v[80:81], v[26:27]
	;; [unrolled: 1-line block ×5, first 2 shown]
	v_fma_f64 v[56:57], v[16:17], s[36:37], v[166:167]
	v_fma_f64 v[64:65], v[16:17], s[36:37], -v[166:167]
	v_fma_f64 v[66:67], v[16:17], s[2:3], v[170:171]
	v_fma_f64 v[90:91], v[16:17], s[2:3], -v[170:171]
	v_add_f64 v[239:240], v[126:127], v[132:133]
	s_waitcnt vmcnt(5)
	v_add_f64 v[8:9], v[8:9], v[54:55]
	s_waitcnt vmcnt(4)
	;; [unrolled: 2-line block ×3, first 2 shown]
	v_add_f64 v[14:15], v[176:177], v[62:63]
	v_fma_f64 v[54:55], v[28:29], s[24:25], v[22:23]
	s_waitcnt vmcnt(0)
	v_add_f64 v[2:3], v[158:159], v[150:151]
	v_fma_f64 v[22:23], v[28:29], s[24:25], -v[22:23]
	v_add_f64 v[28:29], v[48:49], v[116:117]
	v_mul_f64 v[116:117], v[10:11], s[26:27]
	v_mul_f64 v[48:49], v[10:11], s[46:47]
	v_add_f64 v[8:9], v[8:9], v[176:177]
	v_fma_f64 v[60:61], v[6:7], s[6:7], v[92:93]
	v_fma_f64 v[92:93], v[6:7], s[6:7], -v[92:93]
	v_add_f64 v[220:221], v[54:55], v[76:77]
	v_mul_f64 v[54:55], v[4:5], s[38:39]
	v_fma_f64 v[4:5], v[14:15], s[36:37], -v[124:125]
	scratch_store_b64 off, v[204:205], off offset:572 ; 8-byte Folded Spill
	v_fma_f64 v[243:244], v[6:7], s[18:19], v[94:95]
	v_fma_f64 v[241:242], v[6:7], s[18:19], -v[94:95]
	v_fma_f64 v[224:225], v[6:7], s[22:23], v[96:97]
	v_fma_f64 v[136:137], v[6:7], s[22:23], -v[96:97]
	;; [unrolled: 2-line block ×8, first 2 shown]
	v_fma_f64 v[6:7], v[14:15], s[10:11], v[114:115]
	v_add_f64 v[34:35], v[34:35], v[28:29]
	v_fma_f64 v[26:27], v[14:15], s[10:11], -v[114:115]
	v_fma_f64 v[28:29], v[14:15], s[18:19], v[118:119]
	v_fma_f64 v[30:31], v[14:15], s[18:19], -v[118:119]
	v_fma_f64 v[98:99], v[16:17], s[22:23], v[116:117]
	;; [unrolled: 2-line block ×6, first 2 shown]
	v_fma_f64 v[68:69], v[2:3], s[36:37], -v[68:69]
	v_fma_f64 v[72:73], v[2:3], s[24:25], -v[18:19]
	v_fma_f64 v[74:75], v[2:3], s[6:7], v[36:37]
	v_fma_f64 v[76:77], v[2:3], s[6:7], -v[36:37]
	v_fma_f64 v[78:79], v[2:3], s[2:3], v[44:45]
	v_fma_f64 v[80:81], v[2:3], s[2:3], -v[44:45]
	scratch_store_b64 off, v[4:5], off offset:516 ; 8-byte Folded Spill
	v_fma_f64 v[4:5], v[2:3], s[24:25], v[18:19]
	v_fma_f64 v[112:113], v[2:3], s[18:19], v[46:47]
	v_fma_f64 v[18:19], v[2:3], s[10:11], -v[54:55]
	v_fma_f64 v[196:197], v[14:15], s[22:23], v[106:107]
	v_fma_f64 v[206:207], v[14:15], s[22:23], -v[106:107]
	;; [unrolled: 2-line block ×3, first 2 shown]
	v_add_f64 v[204:205], v[22:23], v[20:21]
	v_fma_f64 v[38:39], v[14:15], s[6:7], v[120:121]
	v_fma_f64 v[22:23], v[14:15], s[6:7], -v[120:121]
	v_fma_f64 v[94:95], v[16:17], s[10:11], v[48:49]
	v_fma_f64 v[48:49], v[16:17], s[10:11], -v[48:49]
	;; [unrolled: 2-line block ×6, first 2 shown]
	v_add_f64 v[122:123], v[184:185], -v[182:183]
	v_add_f64 v[36:37], v[0:1], v[146:147]
	v_add_f64 v[44:45], v[0:1], v[56:57]
	v_add_f64 v[56:57], v[0:1], v[90:91]
	v_add_f64 v[90:91], v[0:1], v[98:99]
	v_fma_f64 v[20:21], v[14:15], s[36:37], v[124:125]
	v_add_f64 v[8:9], v[8:9], v[158:159]
	v_add_f64 v[210:211], v[210:211], v[220:221]
	v_add_f64 v[32:33], v[92:93], v[32:33]
	v_add_f64 v[168:169], v[214:215], v[237:238]
	v_add_f64 v[212:213], v[212:213], v[222:223]
	v_add_f64 v[164:165], v[216:217], v[82:83]
	v_add_f64 v[34:35], v[60:61], v[34:35]
	scratch_store_b64 off, v[4:5], off offset:540 ; 8-byte Folded Spill
	v_fma_f64 v[4:5], v[2:3], s[18:19], -v[46:47]
	v_add_f64 v[46:47], v[0:1], v[64:65]
	v_add_f64 v[204:205], v[208:209], v[204:205]
	v_add_f64 v[64:65], v[0:1], v[94:95]
	v_add_f64 v[48:49], v[0:1], v[48:49]
	v_add_f64 v[94:95], v[0:1], v[100:101]
	v_add_f64 v[50:51], v[0:1], v[50:51]
	v_add_f64 v[52:53], v[0:1], v[52:53]
	v_add_f64 v[98:99], v[0:1], v[104:105]
	v_add_f64 v[100:101], v[0:1], v[106:107]
	v_add_f64 v[104:105], v[0:1], v[120:121]
	v_mul_f64 v[106:107], v[122:123], s[30:31]
	v_mul_f64 v[124:125], v[122:123], s[38:39]
	v_add_f64 v[120:121], v[128:129], -v[58:59]
	v_add_f64 v[118:119], v[118:119], v[210:211]
	v_add_f64 v[32:33], v[206:207], v[32:33]
	;; [unrolled: 1-line block ×5, first 2 shown]
	scratch_store_b64 off, v[4:5], off offset:524 ; 8-byte Folded Spill
	v_fma_f64 v[4:5], v[2:3], s[10:11], v[54:55]
	scratch_load_b64 v[2:3], off, off offset:508 ; 8-byte Folded Reload
	v_add_f64 v[54:55], v[0:1], v[66:67]
	v_add_f64 v[66:67], v[0:1], v[96:97]
	;; [unrolled: 1-line block ×5, first 2 shown]
	v_mul_f64 v[130:131], v[120:121], s[46:47]
	v_mul_f64 v[132:133], v[120:121], s[14:15]
	v_add_f64 v[32:33], v[70:71], v[32:33]
	v_add_f64 v[70:71], v[80:81], v[22:23]
	;; [unrolled: 1-line block ×3, first 2 shown]
	scratch_store_b64 off, v[4:5], off offset:532 ; 8-byte Folded Spill
	s_clause 0x8
	scratch_load_b64 v[156:157], off, off offset:344
	scratch_load_b64 v[4:5], off, off offset:484
	;; [unrolled: 1-line block ×9, first 2 shown]
	s_waitcnt vmcnt(9)
	v_add_f64 v[194:195], v[2:3], -v[226:227]
	v_add_f64 v[2:3], v[198:199], -v[200:201]
	v_dual_mov_b32 v227, v175 :: v_dual_mov_b32 v226, v174
	s_delay_alu instid0(VALU_DEP_3)
	v_mul_f64 v[162:163], v[194:195], s[28:29]
	s_waitcnt vmcnt(7)
	v_add_f64 v[0:1], v[4:5], v[156:157]
	v_add_f64 v[36:37], v[36:37], v[4:5]
	s_clause 0x1
	scratch_load_b64 v[4:5], off, off offset:468
	scratch_load_b64 v[140:141], off, off offset:444
	s_waitcnt vmcnt(8)
	v_add_f64 v[8:9], v[8:9], v[142:143]
	v_fma_f64 v[110:111], v[0:1], s[2:3], v[106:107]
	v_fma_f64 v[106:107], v[0:1], s[2:3], -v[106:107]
	s_delay_alu instid0(VALU_DEP_2) | instskip(SKIP_1) | instid1(VALU_DEP_3)
	v_add_f64 v[44:45], v[110:111], v[44:45]
	v_mul_f64 v[110:111], v[122:123], s[16:17]
	v_add_f64 v[46:47], v[106:107], v[46:47]
	s_delay_alu instid0(VALU_DEP_2) | instskip(NEXT) | instid1(VALU_DEP_1)
	v_fma_f64 v[106:107], v[0:1], s[6:7], v[110:111]
	v_add_f64 v[54:55], v[106:107], v[54:55]
	v_fma_f64 v[106:107], v[0:1], s[6:7], -v[110:111]
	v_mul_f64 v[110:111], v[122:123], s[14:15]
	s_delay_alu instid0(VALU_DEP_2) | instskip(NEXT) | instid1(VALU_DEP_2)
	v_add_f64 v[56:57], v[106:107], v[56:57]
	v_fma_f64 v[106:107], v[0:1], s[12:13], v[110:111]
	s_delay_alu instid0(VALU_DEP_1) | instskip(SKIP_2) | instid1(VALU_DEP_2)
	v_add_f64 v[64:65], v[106:107], v[64:65]
	v_fma_f64 v[106:107], v[0:1], s[12:13], -v[110:111]
	v_mul_f64 v[110:111], v[122:123], s[20:21]
	v_add_f64 v[48:49], v[106:107], v[48:49]
	s_delay_alu instid0(VALU_DEP_2) | instskip(NEXT) | instid1(VALU_DEP_1)
	v_fma_f64 v[106:107], v[0:1], s[18:19], v[110:111]
	v_add_f64 v[66:67], v[106:107], v[66:67]
	v_fma_f64 v[106:107], v[0:1], s[18:19], -v[110:111]
	v_mul_f64 v[110:111], v[122:123], s[52:53]
	s_waitcnt vmcnt(1)
	v_add_f64 v[36:37], v[36:37], v[4:5]
	v_add_f64 v[126:127], v[4:5], v[146:147]
	scratch_load_b64 v[4:5], off, off offset:500 ; 8-byte Folded Reload
	v_add_f64 v[50:51], v[106:107], v[50:51]
	v_fma_f64 v[106:107], v[0:1], s[24:25], v[110:111]
	v_add_f64 v[36:37], v[36:37], v[14:15]
	s_delay_alu instid0(VALU_DEP_2) | instskip(SKIP_3) | instid1(VALU_DEP_3)
	v_add_f64 v[90:91], v[106:107], v[90:91]
	v_fma_f64 v[106:107], v[0:1], s[24:25], -v[110:111]
	v_mul_f64 v[110:111], v[122:123], s[44:45]
	v_mul_f64 v[122:123], v[122:123], s[40:41]
	v_add_f64 v[94:95], v[106:107], v[94:95]
	s_delay_alu instid0(VALU_DEP_3) | instskip(SKIP_1) | instid1(VALU_DEP_2)
	v_fma_f64 v[106:107], v[0:1], s[22:23], v[110:111]
	v_fma_f64 v[110:111], v[0:1], s[22:23], -v[110:111]
	v_add_f64 v[96:97], v[106:107], v[96:97]
	s_delay_alu instid0(VALU_DEP_2) | instskip(SKIP_4) | instid1(VALU_DEP_4)
	v_add_f64 v[52:53], v[110:111], v[52:53]
	v_fma_f64 v[106:107], v[0:1], s[10:11], v[124:125]
	v_fma_f64 v[110:111], v[0:1], s[10:11], -v[124:125]
	v_fma_f64 v[124:125], v[0:1], s[36:37], v[122:123]
	v_fma_f64 v[122:123], v[0:1], s[36:37], -v[122:123]
	v_add_f64 v[98:99], v[106:107], v[98:99]
	s_delay_alu instid0(VALU_DEP_4) | instskip(NEXT) | instid1(VALU_DEP_4)
	v_add_f64 v[100:101], v[110:111], v[100:101]
	v_add_f64 v[188:189], v[124:125], v[102:103]
	scratch_load_b64 v[124:125], off, off offset:476 ; 8-byte Folded Reload
	v_add_f64 v[8:9], v[8:9], v[16:17]
	v_fma_f64 v[106:107], v[126:127], s[10:11], v[130:131]
	v_fma_f64 v[110:111], v[126:127], s[10:11], -v[130:131]
	v_mul_f64 v[130:131], v[120:121], s[48:49]
	v_fma_f64 v[102:103], v[126:127], s[12:13], v[132:133]
	v_add_f64 v[186:187], v[122:123], v[104:105]
	v_fma_f64 v[104:105], v[126:127], s[12:13], -v[132:133]
	v_mul_f64 v[122:123], v[120:121], s[44:45]
	v_add_f64 v[190:191], v[106:107], v[44:45]
	v_add_f64 v[182:183], v[110:111], v[46:47]
	v_fma_f64 v[44:45], v[126:127], s[18:19], v[130:131]
	v_mul_f64 v[46:47], v[120:121], s[34:35]
	v_add_f64 v[184:185], v[102:103], v[54:55]
	v_mul_f64 v[54:55], v[120:121], s[42:43]
	v_fma_f64 v[102:103], v[126:127], s[18:19], -v[130:131]
	v_mul_f64 v[110:111], v[120:121], s[16:17]
	v_add_f64 v[106:107], v[192:193], -v[144:145]
	v_add_f64 v[192:193], v[104:105], v[56:57]
	v_fma_f64 v[56:57], v[126:127], s[22:23], v[122:123]
	v_fma_f64 v[104:105], v[126:127], s[22:23], -v[122:123]
	v_mul_f64 v[120:121], v[120:121], s[28:29]
	v_add_f64 v[198:199], v[44:45], v[64:65]
	v_fma_f64 v[44:45], v[126:127], s[2:3], v[46:47]
	v_fma_f64 v[46:47], v[126:127], s[2:3], -v[46:47]
	v_fma_f64 v[122:123], v[126:127], s[36:37], v[54:55]
	v_fma_f64 v[54:55], v[126:127], s[36:37], -v[54:55]
	v_add_f64 v[64:65], v[180:181], -v[148:149]
	v_add_f64 v[148:149], v[56:57], v[66:67]
	v_mul_f64 v[56:57], v[106:107], s[20:21]
	v_add_f64 v[158:159], v[104:105], v[50:51]
	v_mul_f64 v[50:51], v[106:107], s[44:45]
	v_mul_f64 v[66:67], v[106:107], s[34:35]
	v_fma_f64 v[200:201], v[126:127], s[24:25], -v[120:121]
	v_add_f64 v[160:161], v[44:45], v[90:91]
	v_mul_f64 v[44:45], v[106:107], s[40:41]
	v_add_f64 v[174:175], v[46:47], v[94:95]
	v_mul_f64 v[46:47], v[106:107], s[46:47]
	;; [unrolled: 2-line block ×3, first 2 shown]
	v_mul_f64 v[54:55], v[106:107], s[54:55]
	v_add_f64 v[176:177], v[122:123], v[96:97]
	v_fma_f64 v[90:91], v[126:127], s[24:25], v[120:121]
	v_add_f64 v[120:121], v[138:139], v[249:250]
	v_add_f64 v[122:123], v[232:233], v[251:252]
	v_add_f64 v[186:187], v[200:201], v[186:187]
	s_waitcnt vmcnt(1)
	v_add_f64 v[8:9], v[8:9], v[4:5]
	v_add_f64 v[0:1], v[16:17], v[4:5]
	scratch_load_b64 v[4:5], off, off offset:420 ; 8-byte Folded Reload
	v_add_f64 v[16:17], v[102:103], v[48:49]
	v_fma_f64 v[102:103], v[126:127], s[6:7], -v[110:111]
	v_fma_f64 v[48:49], v[126:127], s[6:7], v[110:111]
	v_add_f64 v[110:111], v[14:15], v[230:231]
	scratch_load_b64 v[14:15], off, off offset:376 ; 8-byte Folded Reload
	v_add_f64 v[36:37], v[36:37], v[140:141]
	v_add_f64 v[90:91], v[90:91], v[188:189]
	;; [unrolled: 1-line block ×4, first 2 shown]
	v_mul_f64 v[120:121], v[2:3], s[40:41]
	v_add_f64 v[180:181], v[102:103], v[100:101]
	v_add_f64 v[100:101], v[224:225], v[84:85]
	scratch_load_b64 v[224:225], off, off offset:320 ; 8-byte Folded Reload
	v_add_f64 v[102:103], v[136:137], v[245:246]
	v_fma_f64 v[92:93], v[110:111], s[18:19], v[56:57]
	v_fma_f64 v[202:203], v[110:111], s[18:19], -v[56:57]
	v_add_f64 v[56:57], v[243:244], v[88:89]
	v_add_f64 v[88:89], v[241:242], v[86:87]
	;; [unrolled: 1-line block ×3, first 2 shown]
	v_mul_f64 v[48:49], v[64:65], s[26:27]
	v_mul_f64 v[98:99], v[64:65], s[52:53]
	v_fma_f64 v[60:61], v[110:111], s[22:23], v[50:51]
	v_fma_f64 v[50:51], v[110:111], s[22:23], -v[50:51]
	v_fma_f64 v[126:127], v[110:111], s[36:37], v[44:45]
	v_mul_f64 v[84:85], v[64:65], s[34:35]
	v_fma_f64 v[44:45], v[110:111], s[36:37], -v[44:45]
	v_fma_f64 v[130:131], v[110:111], s[10:11], v[46:47]
	v_mul_f64 v[86:87], v[64:65], s[46:47]
	;; [unrolled: 3-line block ×3, first 2 shown]
	v_fma_f64 v[52:53], v[110:111], s[24:25], -v[52:53]
	v_fma_f64 v[138:139], v[110:111], s[12:13], v[54:55]
	v_fma_f64 v[54:55], v[110:111], s[12:13], -v[54:55]
	v_add_f64 v[26:27], v[72:73], v[26:27]
	v_add_f64 v[72:73], v[112:113], v[20:21]
	;; [unrolled: 1-line block ×4, first 2 shown]
	v_mul_f64 v[100:101], v[194:195], s[20:21]
	v_add_f64 v[10:11], v[10:11], v[102:103]
	v_add_f64 v[92:93], v[92:93], v[184:185]
	;; [unrolled: 1-line block ×5, first 2 shown]
	v_mul_f64 v[88:89], v[194:195], s[42:43]
	v_mul_f64 v[56:57], v[194:195], s[54:55]
	v_mul_f64 v[102:103], v[194:195], s[34:35]
	v_add_f64 v[60:61], v[60:61], v[198:199]
	v_add_f64 v[50:51], v[50:51], v[16:17]
	;; [unrolled: 1-line block ×5, first 2 shown]
	v_mul_f64 v[134:135], v[2:3], s[28:29]
	v_add_f64 v[46:47], v[46:47], v[174:175]
	v_add_f64 v[52:53], v[52:53], v[178:179]
	;; [unrolled: 1-line block ×4, first 2 shown]
	v_mul_f64 v[138:139], v[2:3], s[14:15]
	v_add_f64 v[12:13], v[42:43], v[12:13]
	v_add_f64 v[42:43], v[68:69], v[10:11]
	;; [unrolled: 1-line block ×4, first 2 shown]
	v_fma_f64 v[148:149], v[0:1], s[12:13], v[138:139]
	v_fma_f64 v[138:139], v[0:1], s[12:13], -v[138:139]
	s_waitcnt vmcnt(3)
	v_add_f64 v[8:9], v[8:9], v[124:125]
	v_add_f64 v[144:145], v[142:143], v[124:125]
	v_mul_f64 v[124:125], v[106:107], s[16:17]
	v_add_f64 v[106:107], v[228:229], v[247:248]
	scratch_load_b64 v[228:229], off, off offset:360 ; 8-byte Folded Reload
	v_add_f64 v[142:143], v[154:155], -v[58:59]
	v_add_f64 v[154:155], v[218:219], v[239:240]
	v_add_f64 v[8:9], v[8:9], v[150:151]
	v_fma_f64 v[184:185], v[144:145], s[36:37], v[88:89]
	v_fma_f64 v[96:97], v[110:111], s[6:7], v[124:125]
	v_add_f64 v[6:7], v[6:7], v[106:107]
	v_fma_f64 v[94:95], v[110:111], s[6:7], -v[124:125]
	v_add_f64 v[124:125], v[234:235], v[253:254]
	v_fma_f64 v[88:89], v[144:145], s[36:37], -v[88:89]
	v_mul_f64 v[122:123], v[142:143], s[14:15]
	v_add_f64 v[38:39], v[38:39], v[154:155]
	v_mul_f64 v[154:155], v[142:143], s[42:43]
	v_mul_f64 v[164:165], v[142:143], s[28:29]
	;; [unrolled: 1-line block ×6, first 2 shown]
	v_fma_f64 v[202:203], v[144:145], s[18:19], v[100:101]
	v_fma_f64 v[100:101], v[144:145], s[18:19], -v[100:101]
	v_fma_f64 v[198:199], v[144:145], s[2:3], v[102:103]
	v_fma_f64 v[102:103], v[144:145], s[2:3], -v[102:103]
	v_mul_f64 v[106:107], v[2:3], s[20:21]
	v_fma_f64 v[188:189], v[144:145], s[24:25], v[162:163]
	v_fma_f64 v[162:163], v[144:145], s[24:25], -v[162:163]
	v_add_f64 v[8:9], v[8:9], v[62:63]
	s_clause 0x2
	scratch_load_b64 v[58:59], off, off offset:396
	scratch_load_b64 v[62:63], off, off offset:412
	;; [unrolled: 1-line block ×3, first 2 shown]
	v_add_f64 v[96:97], v[96:97], v[190:191]
	v_add_f64 v[94:95], v[94:95], v[182:183]
	;; [unrolled: 1-line block ×3, first 2 shown]
	v_mul_f64 v[124:125], v[142:143], s[44:45]
	v_fma_f64 v[182:183], v[144:145], s[12:13], v[56:57]
	v_add_f64 v[38:39], v[78:79], v[38:39]
	v_add_f64 v[78:79], v[132:133], v[176:177]
	v_fma_f64 v[56:57], v[144:145], s[12:13], -v[56:57]
	v_add_f64 v[18:19], v[184:185], v[28:29]
	scratch_load_b64 v[10:11], off, off offset:540 ; 8-byte Folded Reload
	v_add_f64 v[34:35], v[188:189], v[34:35]
	v_add_f64 v[32:33], v[162:163], v[32:33]
	;; [unrolled: 1-line block ×4, first 2 shown]
	v_fma_f64 v[130:131], v[0:1], s[36:37], v[120:121]
	v_add_f64 v[22:23], v[202:203], v[38:39]
	v_add_f64 v[16:17], v[56:57], v[26:27]
	;; [unrolled: 1-line block ×3, first 2 shown]
	s_waitcnt vmcnt(7)
	v_add_f64 v[36:37], v[36:37], v[4:5]
	s_waitcnt vmcnt(6)
	v_add_f64 v[104:105], v[140:141], v[14:15]
	v_fma_f64 v[140:141], v[110:111], s[2:3], v[66:67]
	v_fma_f64 v[66:67], v[110:111], s[2:3], -v[66:67]
	v_mul_f64 v[110:111], v[64:65], s[50:51]
	v_mul_f64 v[64:65], v[64:65], s[14:15]
	v_add_f64 v[20:21], v[88:89], v[30:31]
	scratch_load_b64 v[30:31], off, off offset:4 ; 8-byte Folded Reload
	v_add_f64 v[36:37], v[36:37], v[226:227]
	v_fma_f64 v[166:167], v[104:105], s[22:23], v[48:49]
	v_fma_f64 v[48:49], v[104:105], s[22:23], -v[48:49]
	v_fma_f64 v[170:171], v[104:105], s[24:25], v[98:99]
	v_fma_f64 v[98:99], v[104:105], s[24:25], -v[98:99]
	v_add_f64 v[90:91], v[140:141], v[90:91]
	v_fma_f64 v[214:215], v[104:105], s[2:3], v[84:85]
	v_fma_f64 v[82:83], v[104:105], s[2:3], -v[84:85]
	v_fma_f64 v[84:85], v[104:105], s[10:11], v[86:87]
	v_fma_f64 v[86:87], v[104:105], s[10:11], -v[86:87]
	v_fma_f64 v[208:209], v[104:105], s[18:19], v[136:137]
	v_fma_f64 v[136:137], v[104:105], s[18:19], -v[136:137]
	v_fma_f64 v[196:197], v[104:105], s[6:7], v[110:111]
	v_fma_f64 v[110:111], v[104:105], s[6:7], -v[110:111]
	v_fma_f64 v[206:207], v[104:105], s[36:37], v[150:151]
	v_fma_f64 v[150:151], v[104:105], s[36:37], -v[150:151]
	v_fma_f64 v[216:217], v[104:105], s[12:13], v[64:65]
	v_fma_f64 v[64:65], v[104:105], s[12:13], -v[64:65]
	v_mul_f64 v[104:105], v[194:195], s[38:39]
	v_add_f64 v[66:67], v[66:67], v[186:187]
	v_add_f64 v[36:37], v[36:37], v[128:129]
	;; [unrolled: 1-line block ×9, first 2 shown]
	v_fma_f64 v[200:201], v[144:145], s[10:11], v[104:105]
	v_fma_f64 v[104:105], v[144:145], s[10:11], -v[104:105]
	v_add_f64 v[56:57], v[64:65], v[66:67]
	s_waitcnt vmcnt(6)
	v_add_f64 v[36:37], v[36:37], v[224:225]
	s_waitcnt vmcnt(5)
	s_delay_alu instid0(VALU_DEP_1)
	v_add_f64 v[36:37], v[36:37], v[228:229]
	s_waitcnt vmcnt(3)
	v_add_f64 v[58:59], v[58:59], -v[62:63]
	s_waitcnt vmcnt(2)
	v_add_f64 v[218:219], v[4:5], v[220:221]
	scratch_load_b64 v[4:5], off, off offset:20 ; 8-byte Folded Reload
	v_add_f64 v[36:37], v[36:37], v[220:221]
	v_mul_f64 v[220:221], v[142:143], s[30:31]
	v_mul_f64 v[62:63], v[194:195], s[16:17]
	;; [unrolled: 1-line block ×3, first 2 shown]
	s_waitcnt vmcnt(2)
	v_add_f64 v[68:69], v[10:11], v[6:7]
	scratch_load_b64 v[6:7], off, off offset:12 ; 8-byte Folded Reload
	v_mul_f64 v[132:133], v[58:59], s[34:35]
	v_fma_f64 v[64:65], v[218:219], s[12:13], -v[122:123]
	v_fma_f64 v[66:67], v[218:219], s[22:23], v[124:125]
	v_add_f64 v[36:37], v[36:37], v[14:15]
	v_fma_f64 v[72:73], v[218:219], s[36:37], -v[154:155]
	v_fma_f64 v[190:191], v[144:145], s[6:7], v[62:63]
	v_fma_f64 v[62:63], v[144:145], s[6:7], -v[62:63]
	v_fma_f64 v[114:115], v[144:145], s[22:23], v[194:195]
	v_fma_f64 v[116:117], v[144:145], s[22:23], -v[194:195]
	v_fma_f64 v[78:79], v[218:219], s[6:7], v[168:169]
	v_fma_f64 v[86:87], v[218:219], s[18:19], v[222:223]
	v_fma_f64 v[88:89], v[218:219], s[18:19], -v[222:223]
	v_mul_f64 v[144:145], v[2:3], s[26:27]
	v_add_f64 v[14:15], v[182:183], v[68:69]
	v_fma_f64 v[68:69], v[218:219], s[22:23], -v[124:125]
	v_mul_f64 v[124:125], v[58:59], s[42:43]
	v_add_f64 v[48:49], v[64:65], v[48:49]
	v_add_f64 v[64:65], v[66:67], v[92:93]
	;; [unrolled: 1-line block ×10, first 2 shown]
	v_fma_f64 v[90:91], v[218:219], s[10:11], v[112:113]
	v_fma_f64 v[62:63], v[218:219], s[12:13], v[122:123]
	;; [unrolled: 1-line block ×3, first 2 shown]
	v_fma_f64 v[84:85], v[218:219], s[2:3], -v[220:221]
	v_mul_f64 v[110:111], v[58:59], s[28:29]
	v_add_f64 v[116:117], v[116:117], v[126:127]
	v_mul_f64 v[126:127], v[58:59], s[20:21]
	v_mul_f64 v[136:137], v[2:3], s[34:35]
	v_fma_f64 v[122:123], v[0:1], s[18:19], v[106:107]
	v_fma_f64 v[106:107], v[0:1], s[18:19], -v[106:107]
	v_fma_f64 v[152:153], v[0:1], s[22:23], v[144:145]
	v_fma_f64 v[144:145], v[0:1], s[22:23], -v[144:145]
	v_add_f64 v[66:67], v[68:69], v[94:95]
	v_add_f64 v[28:29], v[28:29], v[146:147]
	v_add_f64 v[52:53], v[88:89], v[52:53]
	v_add_f64 v[54:55], v[90:91], v[54:55]
	v_add_f64 v[62:63], v[62:63], v[96:97]
	v_add_f64 v[36:37], v[74:75], v[36:37]
	v_add_f64 v[46:47], v[84:85], v[46:47]
	v_add_f64 v[122:123], v[122:123], v[34:35]
	s_waitcnt vmcnt(1)
	v_add_f64 v[8:9], v[8:9], v[4:5]
	scratch_load_b64 v[4:5], off, off offset:516 ; 8-byte Folded Reload
	s_waitcnt vmcnt(1)
	v_add_f64 v[8:9], v[8:9], v[6:7]
	scratch_load_b64 v[6:7], off, off offset:524 ; 8-byte Folded Reload
	v_add_f64 v[8:9], v[8:9], v[30:31]
	v_add_f64 v[30:31], v[82:83], v[50:51]
	v_fma_f64 v[82:83], v[218:219], s[2:3], v[220:221]
	v_add_f64 v[50:51], v[206:207], v[80:81]
	v_fma_f64 v[80:81], v[218:219], s[6:7], -v[168:169]
	s_delay_alu instid0(VALU_DEP_4) | instskip(NEXT) | instid1(VALU_DEP_4)
	v_add_f64 v[30:31], v[72:73], v[30:31]
	v_add_f64 v[44:45], v[82:83], v[44:45]
	s_delay_alu instid0(VALU_DEP_4) | instskip(NEXT) | instid1(VALU_DEP_4)
	v_add_f64 v[50:51], v[86:87], v[50:51]
	v_add_f64 v[42:43], v[80:81], v[42:43]
	s_waitcnt vmcnt(1)
	v_add_f64 v[4:5], v[4:5], v[212:213]
	s_waitcnt vmcnt(0)
	s_delay_alu instid0(VALU_DEP_1)
	v_add_f64 v[98:99], v[6:7], v[4:5]
	s_clause 0x2
	scratch_load_b64 v[4:5], off, off offset:532
	scratch_load_b64 v[140:141], off, off offset:328
	scratch_load_b64 v[142:143], off, off offset:336
	v_add_f64 v[6:7], v[104:105], v[24:25]
	v_add_f64 v[24:25], v[100:101], v[70:71]
	v_fma_f64 v[100:101], v[218:219], s[10:11], -v[112:113]
	v_add_f64 v[104:105], v[226:227], v[228:229]
	v_fma_f64 v[70:71], v[218:219], s[36:37], v[154:155]
	v_add_f64 v[98:99], v[102:103], v[98:99]
	v_mul_f64 v[102:103], v[58:59], s[38:39]
	v_add_f64 v[56:57], v[100:101], v[56:57]
	v_fma_f64 v[68:69], v[104:105], s[24:25], v[110:111]
	v_add_f64 v[60:61], v[70:71], v[60:61]
	v_fma_f64 v[70:71], v[104:105], s[24:25], -v[110:111]
	v_fma_f64 v[84:85], v[104:105], s[36:37], v[124:125]
	v_fma_f64 v[86:87], v[104:105], s[36:37], -v[124:125]
	v_fma_f64 v[88:89], v[104:105], s[18:19], v[126:127]
	;; [unrolled: 2-line block ×3, first 2 shown]
	v_fma_f64 v[94:95], v[104:105], s[2:3], -v[132:133]
	v_add_f64 v[100:101], v[128:129], v[224:225]
	v_fma_f64 v[126:127], v[0:1], s[2:3], v[136:137]
	v_fma_f64 v[72:73], v[104:105], s[10:11], v[102:103]
	v_fma_f64 v[74:75], v[104:105], s[10:11], -v[102:103]
	v_add_f64 v[48:49], v[70:71], v[48:49]
	v_add_f64 v[42:43], v[86:87], v[42:43]
	;; [unrolled: 1-line block ×9, first 2 shown]
	s_waitcnt vmcnt(2)
	v_add_f64 v[118:119], v[4:5], v[118:119]
	v_add_f64 v[4:5], v[200:201], v[40:41]
	;; [unrolled: 1-line block ×3, first 2 shown]
	v_fma_f64 v[76:77], v[218:219], s[24:25], -v[164:165]
	s_waitcnt vmcnt(0)
	v_add_f64 v[140:141], v[140:141], -v[142:143]
	v_mul_f64 v[142:143], v[2:3], s[38:39]
	v_mul_f64 v[2:3], v[2:3], s[50:51]
	v_add_f64 v[112:113], v[114:115], v[118:119]
	v_mul_f64 v[118:119], v[58:59], s[54:55]
	v_mul_f64 v[114:115], v[58:59], s[16:17]
	;; [unrolled: 1-line block ×3, first 2 shown]
	v_add_f64 v[38:39], v[76:77], v[38:39]
	v_add_f64 v[40:41], v[78:79], v[40:41]
	v_mul_f64 v[102:103], v[140:141], s[20:21]
	v_mul_f64 v[110:111], v[140:141], s[40:41]
	;; [unrolled: 1-line block ×5, first 2 shown]
	v_fma_f64 v[150:151], v[0:1], s[10:11], v[142:143]
	v_fma_f64 v[142:143], v[0:1], s[10:11], -v[142:143]
	v_fma_f64 v[154:155], v[0:1], s[6:7], v[2:3]
	v_fma_f64 v[82:83], v[104:105], s[12:13], -v[118:119]
	;; [unrolled: 2-line block ×3, first 2 shown]
	v_fma_f64 v[80:81], v[104:105], s[12:13], v[118:119]
	v_fma_f64 v[96:97], v[104:105], s[22:23], v[58:59]
	v_fma_f64 v[58:59], v[104:105], s[22:23], -v[58:59]
	v_fma_f64 v[104:105], v[0:1], s[36:37], -v[120:121]
	v_fma_f64 v[114:115], v[0:1], s[24:25], v[134:135]
	v_mul_f64 v[118:119], v[140:141], s[28:29]
	v_fma_f64 v[120:121], v[0:1], s[24:25], -v[134:135]
	v_fma_f64 v[134:135], v[0:1], s[2:3], -v[136:137]
	v_mul_f64 v[136:137], v[140:141], s[38:39]
	v_mul_f64 v[140:141], v[140:141], s[50:51]
	v_fma_f64 v[0:1], v[0:1], s[6:7], -v[2:3]
	v_add_f64 v[2:3], v[28:29], v[156:157]
	v_add_f64 v[28:29], v[68:69], v[62:63]
	;; [unrolled: 1-line block ×4, first 2 shown]
	v_fma_f64 v[66:67], v[100:101], s[18:19], -v[102:103]
	v_fma_f64 v[68:69], v[100:101], s[36:37], v[110:111]
	v_fma_f64 v[70:71], v[100:101], s[36:37], -v[110:111]
	v_fma_f64 v[94:95], v[100:101], s[12:13], -v[132:133]
	v_fma_f64 v[110:111], v[100:101], s[22:23], v[146:147]
	v_add_f64 v[40:41], v[84:85], v[40:41]
	v_add_f64 v[98:99], v[154:155], v[112:113]
	;; [unrolled: 1-line block ×4, first 2 shown]
	scratch_load_b64 v[82:83], off, off offset:28 ; 8-byte Folded Reload
	v_add_f64 v[60:61], v[76:77], v[60:61]
	v_add_f64 v[30:31], v[78:79], v[30:31]
	;; [unrolled: 1-line block ×5, first 2 shown]
	v_fma_f64 v[58:59], v[100:101], s[18:19], v[102:103]
	v_fma_f64 v[72:73], v[100:101], s[24:25], v[118:119]
	v_fma_f64 v[74:75], v[100:101], s[24:25], -v[118:119]
	v_fma_f64 v[76:77], v[100:101], s[2:3], v[124:125]
	v_fma_f64 v[78:79], v[100:101], s[2:3], -v[124:125]
	v_fma_f64 v[80:81], v[100:101], s[12:13], v[132:133]
	v_fma_f64 v[96:97], v[100:101], s[10:11], v[136:137]
	v_fma_f64 v[102:103], v[100:101], s[10:11], -v[136:137]
	v_fma_f64 v[124:125], v[100:101], s[22:23], -v[146:147]
	v_fma_f64 v[132:133], v[100:101], s[6:7], v[140:141]
	v_fma_f64 v[100:101], v[100:101], s[6:7], -v[140:141]
	v_add_f64 v[140:141], v[0:1], v[116:117]
	scratch_load_b64 v[0:1], off, off offset:572 ; 8-byte Folded Reload
	v_add_f64 v[86:87], v[134:135], v[16:17]
	s_waitcnt vmcnt(0) lgkmcnt(0)
	s_waitcnt_vscnt null, 0x0
	s_barrier
	buffer_gl0_inv
	scratch_load_b32 v134, off, off offset:44 ; 4-byte Folded Reload
	v_add_f64 v[146:147], v[106:107], v[32:33]
	v_add_f64 v[106:107], v[130:131], v[4:5]
	;; [unrolled: 1-line block ×6, first 2 shown]
	v_add_nc_u32_e32 v4, 0x400, v255
	v_add_f64 v[112:113], v[66:67], v[48:49]
	v_add_f64 v[150:151], v[68:69], v[62:63]
	;; [unrolled: 1-line block ×3, first 2 shown]
	s_waitcnt vmcnt(0)
	ds_load_b64 v[241:242], v134
	ds_load_2addr_b64 v[12:15], v255 offset0:119 offset1:136
	v_add_f64 v[136:137], v[8:9], v[82:83]
	v_add_f64 v[82:83], v[104:105], v[6:7]
	;; [unrolled: 1-line block ×4, first 2 shown]
	v_add_nc_u32_e32 v60, 0x800, v255
	v_add_f64 v[154:155], v[2:3], v[0:1]
	v_add_f64 v[156:157], v[58:59], v[28:29]
	;; [unrolled: 1-line block ×3, first 2 shown]
	v_add_nc_u32_e32 v64, 0x1000, v255
	v_add_f64 v[116:117], v[74:75], v[30:31]
	v_add_f64 v[144:145], v[76:77], v[36:37]
	;; [unrolled: 1-line block ×10, first 2 shown]
	ds_load_2addr_b64 v[16:19], v255 offset0:221 offset1:238
	ds_load_2addr_b64 v[20:23], v60 offset0:101 offset1:118
	;; [unrolled: 1-line block ×16, first 2 shown]
	s_waitcnt lgkmcnt(0)
	s_barrier
	buffer_gl0_inv
	ds_store_2addr_b64 v108, v[136:137], v[122:123] offset1:7
	ds_store_2addr_b64 v108, v[106:107], v[104:105] offset0:14 offset1:21
	ds_store_2addr_b64 v108, v[120:121], v[126:127] offset0:28 offset1:35
	;; [unrolled: 1-line block ×7, first 2 shown]
	ds_store_b64 v108, v[146:147] offset:896
	ds_store_2addr_b64 v109, v[154:155], v[156:157] offset1:7
	ds_store_2addr_b64 v109, v[150:151], v[152:153] offset0:14 offset1:21
	ds_store_2addr_b64 v109, v[144:145], v[148:149] offset0:28 offset1:35
	;; [unrolled: 1-line block ×7, first 2 shown]
	ds_store_b64 v109, v[112:113] offset:896
	s_and_saveexec_b32 s33, s0
	s_cbranch_execz .LBB0_18
; %bb.17:
	s_clause 0x9
	scratch_load_b64 v[70:71], off, off offset:288
	scratch_load_b64 v[128:129], off, off offset:312
	scratch_load_b64 v[74:75], off, off offset:256
	scratch_load_b64 v[78:79], off, off offset:240
	scratch_load_b64 v[82:83], off, off offset:216
	scratch_load_b64 v[226:227], off, off offset:48
	scratch_load_b64 v[72:73], off, off offset:280
	scratch_load_b64 v[76:77], off, off offset:296
	scratch_load_b64 v[86:87], off, off offset:192
	scratch_load_b64 v[228:229], off, off offset:56
	s_mov_b32 s24, 0x5d8e7cdc
	s_mov_b32 s42, 0x7c9e640b
	;; [unrolled: 1-line block ×43, first 2 shown]
	s_waitcnt vmcnt(8)
	v_add_f64 v[68:69], v[128:129], v[70:71]
	s_waitcnt vmcnt(4)
	v_add_f64 v[70:71], v[70:71], v[226:227]
	s_waitcnt vmcnt(2)
	v_add_f64 v[72:73], v[72:73], -v[76:77]
	s_clause 0x3
	scratch_load_b64 v[76:77], off, off offset:248
	scratch_load_b64 v[80:81], off, off offset:272
	;; [unrolled: 1-line block ×4, first 2 shown]
	v_add_f64 v[68:69], v[68:69], v[74:75]
	s_waitcnt vmcnt(4)
	v_add_f64 v[74:75], v[74:75], v[228:229]
	v_mul_f64 v[104:105], v[72:73], s[30:31]
	v_mul_f64 v[106:107], v[72:73], s[42:43]
	;; [unrolled: 1-line block ×6, first 2 shown]
	v_add_f64 v[68:69], v[68:69], v[78:79]
	v_fma_f64 v[168:169], v[70:71], s[2:3], v[104:105]
	v_fma_f64 v[104:105], v[70:71], s[2:3], -v[104:105]
	v_fma_f64 v[170:171], v[70:71], s[6:7], v[106:107]
	v_fma_f64 v[172:173], v[70:71], s[10:11], v[108:109]
	v_fma_f64 v[108:109], v[70:71], s[10:11], -v[108:109]
	v_fma_f64 v[174:175], v[70:71], s[12:13], v[110:111]
	;; [unrolled: 3-line block ×3, first 2 shown]
	v_fma_f64 v[114:115], v[70:71], s[16:17], -v[114:115]
	v_fma_f64 v[110:111], v[70:71], s[12:13], -v[110:111]
	;; [unrolled: 1-line block ×3, first 2 shown]
	v_add_f64 v[68:69], v[68:69], v[82:83]
	v_add_f64 v[104:105], v[128:129], v[104:105]
	v_add_f64 v[108:109], v[128:129], v[108:109]
	v_add_f64 v[112:113], v[128:129], v[112:113]
	v_add_f64 v[114:115], v[128:129], v[114:115]
	v_add_f64 v[110:111], v[128:129], v[110:111]
	v_add_f64 v[106:107], v[128:129], v[106:107]
	v_add_f64 v[68:69], v[68:69], v[86:87]
	s_waitcnt vmcnt(2)
	v_add_f64 v[76:77], v[76:77], -v[80:81]
	s_clause 0x2
	scratch_load_b64 v[80:81], off, off offset:224
	scratch_load_b64 v[84:85], off, off offset:264
	;; [unrolled: 1-line block ×3, first 2 shown]
	s_waitcnt vmcnt(4)
	v_add_f64 v[68:69], v[68:69], v[90:91]
	s_waitcnt vmcnt(3)
	v_add_f64 v[78:79], v[78:79], v[230:231]
	v_mul_f64 v[116:117], v[76:77], s[30:31]
	v_mul_f64 v[118:119], v[76:77], s[28:29]
	;; [unrolled: 1-line block ×6, first 2 shown]
	v_fma_f64 v[190:191], v[74:75], s[2:3], v[116:117]
	v_fma_f64 v[116:117], v[74:75], s[2:3], -v[116:117]
	v_fma_f64 v[192:193], v[74:75], s[10:11], v[118:119]
	v_fma_f64 v[118:119], v[74:75], s[10:11], -v[118:119]
	;; [unrolled: 2-line block ×6, first 2 shown]
	v_add_f64 v[104:105], v[118:119], v[104:105]
	v_add_f64 v[106:107], v[120:121], v[106:107]
	;; [unrolled: 1-line block ×4, first 2 shown]
	s_waitcnt vmcnt(1)
	v_add_f64 v[80:81], v[80:81], -v[84:85]
	s_clause 0x2
	scratch_load_b64 v[84:85], off, off offset:208
	scratch_load_b64 v[88:89], off, off offset:232
	;; [unrolled: 1-line block ×3, first 2 shown]
	s_waitcnt vmcnt(3)
	v_add_f64 v[82:83], v[82:83], v[232:233]
	v_mul_f64 v[132:133], v[80:81], s[42:43]
	v_mul_f64 v[136:137], v[80:81], s[22:23]
	;; [unrolled: 1-line block ×8, first 2 shown]
	v_fma_f64 v[210:211], v[78:79], s[6:7], v[132:133]
	v_fma_f64 v[132:133], v[78:79], s[6:7], -v[132:133]
	v_fma_f64 v[212:213], v[78:79], s[14:15], v[136:137]
	v_fma_f64 v[136:137], v[78:79], s[14:15], -v[136:137]
	v_fma_f64 v[214:215], v[78:79], s[20:21], v[138:139]
	v_fma_f64 v[138:139], v[78:79], s[20:21], -v[138:139]
	v_fma_f64 v[216:217], v[78:79], s[12:13], v[140:141]
	v_fma_f64 v[140:141], v[78:79], s[12:13], -v[140:141]
	v_fma_f64 v[218:219], v[78:79], s[2:3], v[142:143]
	v_fma_f64 v[142:143], v[78:79], s[2:3], -v[142:143]
	v_fma_f64 v[220:221], v[78:79], s[0:1], v[144:145]
	v_fma_f64 v[144:145], v[78:79], s[0:1], -v[144:145]
	v_fma_f64 v[222:223], v[78:79], s[10:11], v[146:147]
	v_fma_f64 v[146:147], v[78:79], s[10:11], -v[146:147]
	v_fma_f64 v[224:225], v[78:79], s[16:17], v[80:81]
	v_fma_f64 v[78:79], v[78:79], s[16:17], -v[80:81]
	v_add_f64 v[106:107], v[138:139], v[106:107]
	v_add_f64 v[108:109], v[140:141], v[108:109]
	v_add_f64 v[112:113], v[144:145], v[112:113]
	s_waitcnt vmcnt(1)
	v_add_f64 v[84:85], v[84:85], -v[88:89]
	s_clause 0x2
	scratch_load_b64 v[88:89], off, off offset:184
	scratch_load_b64 v[92:93], off, off offset:200
	;; [unrolled: 1-line block ×3, first 2 shown]
	s_waitcnt vmcnt(3)
	v_add_f64 v[86:87], v[86:87], v[234:235]
	v_mul_f64 v[148:149], v[84:85], s[28:29]
	v_mul_f64 v[150:151], v[84:85], s[36:37]
	;; [unrolled: 1-line block ×8, first 2 shown]
	s_waitcnt vmcnt(1)
	v_add_f64 v[88:89], v[88:89], -v[92:93]
	s_clause 0x9
	scratch_load_b64 v[92:93], off, off offset:160
	scratch_load_b64 v[94:95], off, off offset:176
	scratch_load_b64 v[239:240], off, off offset:96
	scratch_load_b64 v[124:125], off, off offset:120
	scratch_load_b64 v[96:97], off, off offset:144
	scratch_load_b64 v[98:99], off, off offset:152
	scratch_load_b64 v[206:207], off, off offset:104
	scratch_load_b64 v[182:183], off, off offset:112
	scratch_load_b64 v[100:101], off, off offset:128
	scratch_load_b64 v[102:103], off, off offset:136
	s_waitcnt vmcnt(10)
	v_add_f64 v[90:91], v[90:91], v[237:238]
	v_mul_f64 v[162:163], v[88:89], s[18:19]
	v_mul_f64 v[164:165], v[88:89], s[50:51]
	;; [unrolled: 1-line block ×5, first 2 shown]
	s_waitcnt vmcnt(8)
	v_add_f64 v[92:93], v[92:93], -v[94:95]
	s_waitcnt vmcnt(6)
	v_add_f64 v[94:95], v[124:125], v[239:240]
	v_add_f64 v[68:69], v[68:69], v[124:125]
	v_mul_f64 v[124:125], v[76:77], s[50:51]
	s_waitcnt vmcnt(0)
	v_add_f64 v[100:101], v[100:101], -v[102:103]
	v_mul_f64 v[102:103], v[72:73], s[24:25]
	v_mul_f64 v[72:73], v[72:73], s[36:37]
	;; [unrolled: 1-line block ×3, first 2 shown]
	v_add_f64 v[96:97], v[96:97], -v[98:99]
	v_add_f64 v[98:99], v[182:183], v[206:207]
	v_mul_f64 v[208:209], v[92:93], s[26:27]
	v_mul_f64 v[120:121], v[92:93], s[36:37]
	v_add_f64 v[68:69], v[68:69], v[182:183]
	v_fma_f64 v[198:199], v[74:75], s[16:17], v[124:125]
	v_fma_f64 v[124:125], v[74:75], s[16:17], -v[124:125]
	v_fma_f64 v[166:167], v[70:71], s[0:1], v[102:103]
	v_fma_f64 v[180:181], v[70:71], s[20:21], v[72:73]
	v_fma_f64 v[72:73], v[70:71], s[20:21], -v[72:73]
	v_fma_f64 v[70:71], v[70:71], s[0:1], -v[102:103]
	v_fma_f64 v[204:205], v[74:75], s[0:1], v[76:77]
	v_fma_f64 v[74:75], v[74:75], s[0:1], -v[76:77]
	v_mul_f64 v[102:103], v[88:89], s[38:39]
	v_mul_f64 v[182:183], v[88:89], s[42:43]
	;; [unrolled: 1-line block ×5, first 2 shown]
	v_add_f64 v[68:69], v[68:69], v[206:207]
	v_mul_f64 v[206:207], v[92:93], s[24:25]
	v_add_f64 v[110:111], v[124:125], v[110:111]
	v_add_f64 v[76:77], v[128:129], v[166:167]
	;; [unrolled: 1-line block ×11, first 2 shown]
	v_mul_f64 v[128:129], v[92:93], s[22:23]
	v_mul_f64 v[180:181], v[92:93], s[46:47]
	;; [unrolled: 1-line block ×3, first 2 shown]
	v_add_f64 v[68:69], v[68:69], v[239:240]
	v_add_f64 v[76:77], v[190:191], v[76:77]
	;; [unrolled: 1-line block ×12, first 2 shown]
	v_fma_f64 v[130:131], v[82:83], s[10:11], v[148:149]
	v_fma_f64 v[148:149], v[82:83], s[10:11], -v[148:149]
	v_fma_f64 v[172:173], v[82:83], s[20:21], v[150:151]
	v_fma_f64 v[150:151], v[82:83], s[20:21], -v[150:151]
	;; [unrolled: 2-line block ×8, first 2 shown]
	v_mul_f64 v[114:115], v[92:93], s[44:45]
	v_mul_f64 v[116:117], v[92:93], s[30:31]
	;; [unrolled: 1-line block ×3, first 2 shown]
	v_add_f64 v[84:85], v[136:137], v[104:105]
	v_fma_f64 v[196:197], v[86:87], s[20:21], v[184:185]
	v_fma_f64 v[184:185], v[86:87], s[20:21], -v[184:185]
	v_fma_f64 v[198:199], v[86:87], s[10:11], v[186:187]
	v_fma_f64 v[186:187], v[86:87], s[10:11], -v[186:187]
	;; [unrolled: 2-line block ×3, first 2 shown]
	v_fma_f64 v[202:203], v[86:87], s[14:15], v[88:89]
	v_add_f64 v[76:77], v[210:211], v[76:77]
	v_add_f64 v[80:81], v[212:213], v[80:81]
	;; [unrolled: 1-line block ×12, first 2 shown]
	v_fma_f64 v[146:147], v[86:87], s[12:13], v[162:163]
	v_fma_f64 v[162:163], v[86:87], s[12:13], -v[162:163]
	v_fma_f64 v[166:167], v[86:87], s[16:17], v[164:165]
	v_fma_f64 v[164:165], v[86:87], s[16:17], -v[164:165]
	v_fma_f64 v[168:169], v[86:87], s[2:3], v[102:103]
	v_fma_f64 v[102:103], v[86:87], s[2:3], -v[102:103]
	v_fma_f64 v[170:171], v[86:87], s[6:7], v[182:183]
	v_fma_f64 v[182:183], v[86:87], s[6:7], -v[182:183]
	v_fma_f64 v[86:87], v[86:87], s[14:15], -v[88:89]
	v_mul_f64 v[110:111], v[96:97], s[34:35]
	v_mul_f64 v[132:133], v[96:97], s[28:29]
	;; [unrolled: 1-line block ×3, first 2 shown]
	v_add_f64 v[108:109], v[154:155], v[108:109]
	v_add_f64 v[112:113], v[158:159], v[112:113]
	v_fma_f64 v[154:155], v[90:91], s[12:13], -v[180:181]
	v_fma_f64 v[158:159], v[90:91], s[0:1], -v[206:207]
	v_add_f64 v[68:69], v[68:69], v[237:238]
	v_add_f64 v[84:85], v[150:151], v[84:85]
	v_fma_f64 v[150:151], v[90:91], s[14:15], v[128:129]
	v_fma_f64 v[128:129], v[90:91], s[14:15], -v[128:129]
	v_add_f64 v[76:77], v[130:131], v[76:77]
	v_add_f64 v[80:81], v[172:173], v[80:81]
	;; [unrolled: 1-line block ×13, first 2 shown]
	v_mul_f64 v[106:107], v[96:97], s[38:39]
	v_mul_f64 v[96:97], v[96:97], s[18:19]
	v_fma_f64 v[152:153], v[90:91], s[12:13], v[180:181]
	v_fma_f64 v[156:157], v[90:91], s[0:1], v[206:207]
	;; [unrolled: 1-line block ×3, first 2 shown]
	v_fma_f64 v[172:173], v[90:91], s[16:17], -v[208:209]
	v_fma_f64 v[174:175], v[90:91], s[10:11], v[114:115]
	v_fma_f64 v[114:115], v[90:91], s[10:11], -v[114:115]
	v_fma_f64 v[176:177], v[90:91], s[2:3], v[116:117]
	;; [unrolled: 2-line block ×4, first 2 shown]
	v_fma_f64 v[90:91], v[90:91], s[6:7], -v[92:93]
	v_mul_f64 v[136:137], v[100:101], s[36:37]
	v_mul_f64 v[140:141], v[100:101], s[40:41]
	;; [unrolled: 1-line block ×3, first 2 shown]
	v_add_f64 v[84:85], v[164:165], v[84:85]
	v_add_f64 v[112:113], v[186:187], v[112:113]
	v_fma_f64 v[164:165], v[94:95], s[6:7], v[110:111]
	v_fma_f64 v[110:111], v[94:95], s[6:7], -v[110:111]
	v_add_f64 v[68:69], v[68:69], v[234:235]
	v_add_f64 v[76:77], v[146:147], v[76:77]
	;; [unrolled: 1-line block ×15, first 2 shown]
	v_mul_f64 v[86:87], v[100:101], s[38:39]
	v_mul_f64 v[102:103], v[100:101], s[22:23]
	v_mul_f64 v[130:131], v[100:101], s[34:35]
	v_mul_f64 v[146:147], v[100:101], s[18:19]
	v_mul_f64 v[100:101], v[100:101], s[44:45]
	v_fma_f64 v[162:163], v[94:95], s[16:17], v[124:125]
	v_fma_f64 v[124:125], v[94:95], s[16:17], -v[124:125]
	v_fma_f64 v[166:167], v[94:95], s[10:11], v[132:133]
	v_fma_f64 v[132:133], v[94:95], s[10:11], -v[132:133]
	;; [unrolled: 2-line block ×7, first 2 shown]
	v_add_f64 v[112:113], v[116:117], v[112:113]
	v_add_f64 v[68:69], v[68:69], v[232:233]
	v_add_f64 v[84:85], v[154:155], v[84:85]
	v_add_f64 v[76:77], v[150:151], v[76:77]
	v_add_f64 v[80:81], v[152:153], v[80:81]
	v_add_f64 v[72:73], v[90:91], v[72:73]
	v_fma_f64 v[90:91], v[98:99], s[20:21], v[136:137]
	v_add_f64 v[88:89], v[156:157], v[88:89]
	v_add_f64 v[96:97], v[172:173], v[104:105]
	;; [unrolled: 1-line block ×8, first 2 shown]
	v_fma_f64 v[114:115], v[98:99], s[20:21], -v[136:137]
	v_add_f64 v[70:71], v[128:129], v[70:71]
	v_fma_f64 v[120:121], v[98:99], s[0:1], v[140:141]
	v_fma_f64 v[122:123], v[98:99], s[0:1], -v[140:141]
	v_fma_f64 v[126:127], v[98:99], s[16:17], v[148:149]
	v_fma_f64 v[128:129], v[98:99], s[16:17], -v[148:149]
	;; [unrolled: 2-line block ×7, first 2 shown]
	v_add_f64 v[92:93], v[160:161], v[92:93]
	v_add_f64 v[82:83], v[158:159], v[82:83]
	;; [unrolled: 1-line block ×24, first 2 shown]
	s_clause 0x1
	scratch_load_b32 v98, off, off
	scratch_load_b32 v99, off, off offset:392
	v_add_f64 v[88:89], v[126:127], v[88:89]
	v_add_f64 v[86:87], v[86:87], v[96:97]
	;; [unrolled: 1-line block ×13, first 2 shown]
	s_waitcnt vmcnt(0)
	v_add3_u32 v98, 0, v99, v98
	s_delay_alu instid0(VALU_DEP_1)
	v_add_nc_u32_e32 v99, 0x800, v98
	v_add_nc_u32_e32 v102, 0x1000, v98
	ds_store_2addr_b64 v99, v[80:81], v[88:89] offset0:234 offset1:241
	ds_store_2addr_b64 v99, v[90:91], v[92:93] offset0:248 offset1:255
	;; [unrolled: 1-line block ×8, first 2 shown]
	ds_store_b64 v98, v[70:71] offset:4704
.LBB0_18:
	s_or_b32 exec_lo, exec_lo, s33
	s_waitcnt lgkmcnt(0)
	s_barrier
	buffer_gl0_inv
	s_and_saveexec_b32 s0, vcc_lo
	s_cbranch_execz .LBB0_20
; %bb.19:
	v_dual_mov_b32 v125, 0 :: v_dual_add_nc_u32 v4, 0x66, v236
	v_add_nc_u32_e32 v130, 51, v236
	v_add_nc_u32_e32 v133, 34, v236
	;; [unrolled: 1-line block ×3, first 2 shown]
	scratch_store_b32 off, v4, off          ; 4-byte Folded Spill
	v_dual_mov_b32 v237, v125 :: v_dual_lshlrev_b32 v124, 2, v4
	v_add_nc_u32_e32 v4, 0x55, v236
	s_mov_b32 s6, 0x134454ff
	s_mov_b32 s7, 0xbfee6f0e
	s_delay_alu instid0(VALU_DEP_2)
	v_lshlrev_b64 v[68:69], 4, v[124:125]
	s_mov_b32 s2, 0x4755a5e
	v_lshlrev_b32_e32 v124, 2, v4
	scratch_store_b32 off, v4, off offset:4 ; 4-byte Folded Spill
	v_add_nc_u32_e32 v4, 0x44, v236
	s_mov_b32 s3, 0x3fe2cf23
	v_add_co_u32 v108, vcc_lo, s4, v68
	v_lshlrev_b64 v[70:71], 4, v[124:125]
	v_add_co_ci_u32_e32 v109, vcc_lo, s5, v69, vcc_lo
	scratch_store_b32 off, v4, off offset:12 ; 4-byte Folded Spill
	v_lshlrev_b32_e32 v124, 2, v4
	v_mov_b32_e32 v4, v241
	v_add_co_u32 v76, vcc_lo, s4, v70
	v_add_co_ci_u32_e32 v77, vcc_lo, s5, v71, vcc_lo
	s_clause 0x1
	global_load_b128 v[72:75], v[108:109], off offset:1840
	global_load_b128 v[68:71], v[76:77], off offset:1840
	v_lshlrev_b64 v[78:79], 4, v[124:125]
	s_clause 0x3
	global_load_b128 v[96:99], v[108:109], off offset:1808
	global_load_b128 v[84:87], v[76:77], off offset:1808
	;; [unrolled: 1-line block ×4, first 2 shown]
	v_dual_mov_b32 v5, v242 :: v_dual_lshlrev_b32 v124, 2, v130
	v_add_co_u32 v78, vcc_lo, s4, v78
	v_add_co_ci_u32_e32 v79, vcc_lo, s5, v79, vcc_lo
	s_delay_alu instid0(VALU_DEP_3)
	v_lshlrev_b64 v[76:77], 4, v[124:125]
	v_lshlrev_b32_e32 v124, 2, v133
	s_mov_b32 s0, 0x372fe950
	s_clause 0x1
	global_load_b128 v[104:107], v[78:79], off offset:1792
	global_load_b128 v[116:119], v[78:79], off offset:1824
	s_mov_b32 s1, 0x3fd3c6ef
	v_add_co_u32 v131, vcc_lo, s4, v76
	v_add_co_ci_u32_e32 v132, vcc_lo, s5, v77, vcc_lo
	s_clause 0x3
	global_load_b128 v[100:103], v[78:79], off offset:1840
	global_load_b128 v[92:95], v[131:132], off offset:1840
	;; [unrolled: 1-line block ×4, first 2 shown]
	v_lshlrev_b64 v[140:141], 4, v[124:125]
	s_clause 0x2
	global_load_b128 v[112:115], v[108:109], off offset:1792
	global_load_b128 v[136:139], v[131:132], off offset:1792
	;; [unrolled: 1-line block ×3, first 2 shown]
	v_add_nc_u32_e32 v124, 17, v236
	v_add_co_u32 v156, vcc_lo, s4, v140
	v_add_co_ci_u32_e32 v157, vcc_lo, s5, v141, vcc_lo
	s_clause 0x4
	global_load_b128 v[140:143], v[131:132], off offset:1824
	global_load_b128 v[144:147], v[156:157], off offset:1808
	;; [unrolled: 1-line block ×5, first 2 shown]
	v_lshlrev_b32_e32 v124, 2, v124
	s_delay_alu instid0(VALU_DEP_1) | instskip(SKIP_1) | instid1(VALU_DEP_2)
	v_lshlrev_b64 v[131:132], 4, v[124:125]
	v_lshlrev_b32_e32 v124, 2, v236
	v_add_co_u32 v131, vcc_lo, s4, v131
	s_delay_alu instid0(VALU_DEP_2) | instskip(NEXT) | instid1(VALU_DEP_4)
	v_lshlrev_b64 v[176:177], 4, v[124:125]
	v_add_co_ci_u32_e32 v132, vcc_lo, s5, v132, vcc_lo
	s_clause 0x3
	global_load_b128 v[160:163], v[131:132], off offset:1808
	global_load_b128 v[164:167], v[131:132], off offset:1792
	;; [unrolled: 1-line block ×4, first 2 shown]
	v_add_co_u32 v131, vcc_lo, s4, v176
	v_add_co_ci_u32_e32 v132, vcc_lo, s5, v177, vcc_lo
	v_add_nc_u32_e32 v124, 0x1000, v255
	s_clause 0x3
	global_load_b128 v[176:179], v[131:132], off offset:1808
	global_load_b128 v[180:183], v[131:132], off offset:1792
	global_load_b128 v[184:187], v[131:132], off offset:1824
	global_load_b128 v[188:191], v[131:132], off offset:1840
	s_mov_b32 s5, 0xbfe2cf23
	ds_load_2addr_b64 v[192:195], v124 offset0:49 offset1:66
	ds_load_2addr_b64 v[196:199], v126 offset0:67 offset1:84
	ds_load_2addr_b64 v[200:203], v255 offset0:187 offset1:204
	ds_load_2addr_b64 v[208:211], v124 offset0:15 offset1:32
	ds_load_2addr_b64 v[212:215], v126 offset0:33 offset1:50
	v_add_nc_u32_e32 v124, 0x400, v255
	ds_load_2addr_b64 v[204:207], v126 offset0:169 offset1:186
	ds_load_2addr_b64 v[216:219], v255 offset0:221 offset1:238
	s_mov_b32 s4, s2
	s_waitcnt vmcnt(27)
	v_mul_f64 v[131:132], v[66:67], v[74:75]
	s_waitcnt lgkmcnt(6)
	v_mul_f64 v[74:75], v[194:195], v[74:75]
	s_waitcnt vmcnt(26)
	v_mul_f64 v[220:221], v[64:65], v[70:71]
	v_mul_f64 v[222:223], v[192:193], v[70:71]
	s_waitcnt vmcnt(25)
	v_mul_f64 v[224:225], v[62:63], v[98:99]
	s_waitcnt lgkmcnt(5)
	v_mul_f64 v[98:99], v[198:199], v[98:99]
	s_waitcnt vmcnt(24)
	v_mul_f64 v[226:227], v[60:61], v[86:87]
	v_mul_f64 v[86:87], v[196:197], v[86:87]
	s_waitcnt vmcnt(23)
	v_mul_f64 v[228:229], v[58:59], v[82:83]
	s_waitcnt lgkmcnt(4)
	v_mul_f64 v[82:83], v[202:203], v[82:83]
	s_waitcnt vmcnt(22)
	v_mul_f64 v[232:233], v[54:55], v[122:123]
	s_waitcnt lgkmcnt(1)
	v_mul_f64 v[122:123], v[206:207], v[122:123]
	s_waitcnt vmcnt(21)
	v_mul_f64 v[230:231], v[56:57], v[106:107]
	v_mul_f64 v[106:107], v[200:201], v[106:107]
	s_waitcnt vmcnt(20)
	v_mul_f64 v[234:235], v[52:53], v[118:119]
	v_mul_f64 v[118:119], v[204:205], v[118:119]
	v_fma_f64 v[70:71], v[194:195], v[72:73], v[131:132]
	v_fma_f64 v[72:73], v[66:67], v[72:73], -v[74:75]
	v_fma_f64 v[66:67], v[192:193], v[68:69], v[220:221]
	s_waitcnt vmcnt(19)
	v_mul_f64 v[74:75], v[50:51], v[102:103]
	v_mul_f64 v[102:103], v[210:211], v[102:103]
	v_fma_f64 v[64:65], v[64:65], v[68:69], -v[222:223]
	s_waitcnt vmcnt(18)
	v_mul_f64 v[68:69], v[48:49], v[94:95]
	v_mul_f64 v[131:132], v[208:209], v[94:95]
	s_waitcnt vmcnt(17)
	v_mul_f64 v[220:221], v[46:47], v[78:79]
	v_mul_f64 v[222:223], v[214:215], v[78:79]
	ds_load_2addr_b64 v[192:195], v255 offset0:153 offset1:170
	v_fma_f64 v[198:199], v[198:199], v[96:97], v[224:225]
	v_fma_f64 v[98:99], v[62:63], v[96:97], -v[98:99]
	ds_load_2addr_b64 v[94:97], v126 offset0:203 offset1:220
	v_fma_f64 v[196:197], v[196:197], v[84:85], v[226:227]
	v_fma_f64 v[86:87], v[60:61], v[84:85], -v[86:87]
	;; [unrolled: 3-line block ×3, first 2 shown]
	v_fma_f64 v[200:201], v[200:201], v[104:105], v[230:231]
	ds_load_2addr_b64 v[78:81], v255 offset0:119 offset1:136
	ds_load_2addr_b64 v[82:85], v124 offset0:127 offset1:144
	v_fma_f64 v[104:105], v[56:57], v[104:105], -v[106:107]
	ds_load_2addr_b64 v[56:59], v126 offset0:237 offset1:254
	s_waitcnt vmcnt(16)
	v_mul_f64 v[224:225], v[44:45], v[90:91]
	v_mul_f64 v[90:91], v[212:213], v[90:91]
	s_waitcnt vmcnt(15)
	v_mul_f64 v[106:107], v[16:17], v[114:115]
	v_fma_f64 v[206:207], v[206:207], v[120:121], v[232:233]
	v_fma_f64 v[120:121], v[54:55], v[120:121], -v[122:123]
	s_waitcnt vmcnt(13)
	v_mul_f64 v[122:123], v[24:25], v[110:111]
	v_mul_f64 v[228:229], v[38:39], v[138:139]
	s_waitcnt lgkmcnt(5)
	v_mul_f64 v[138:139], v[194:195], v[138:139]
	v_fma_f64 v[204:205], v[204:205], v[116:117], v[234:235]
	v_fma_f64 v[116:117], v[52:53], v[116:117], -v[118:119]
	s_waitcnt lgkmcnt(4)
	v_mul_f64 v[110:111], v[94:95], v[110:111]
	ds_load_2addr_b64 v[52:55], v126 offset0:101 offset1:118
	v_mul_f64 v[114:115], v[216:217], v[114:115]
	s_waitcnt vmcnt(12)
	v_mul_f64 v[118:119], v[42:43], v[142:143]
	s_waitcnt lgkmcnt(4)
	v_mul_f64 v[142:143], v[62:63], v[142:143]
	v_fma_f64 v[74:75], v[210:211], v[100:101], v[74:75]
	v_fma_f64 v[50:51], v[50:51], v[100:101], -v[102:103]
	s_waitcnt vmcnt(10)
	v_mul_f64 v[102:103], v[36:37], v[150:151]
	v_fma_f64 v[68:69], v[208:209], v[92:93], v[68:69]
	s_waitcnt vmcnt(8)
	v_mul_f64 v[208:209], v[40:41], v[158:159]
	v_mul_f64 v[210:211], v[34:35], v[154:155]
	v_fma_f64 v[92:93], v[48:49], v[92:93], -v[131:132]
	v_mul_f64 v[131:132], v[192:193], v[150:151]
	s_waitcnt lgkmcnt(1)
	v_mul_f64 v[150:151], v[58:59], v[154:155]
	v_mul_f64 v[154:155], v[60:61], v[158:159]
	v_fma_f64 v[158:159], v[214:215], v[76:77], v[220:221]
	v_fma_f64 v[76:77], v[46:47], v[76:77], -v[222:223]
	scratch_load_b64 v[46:47], off, off offset:36 ; 8-byte Folded Reload
	s_waitcnt vmcnt(8)
	v_mul_f64 v[214:215], v[28:29], v[162:163]
	s_waitcnt vmcnt(7)
	v_mul_f64 v[220:221], v[14:15], v[166:167]
	v_mul_f64 v[162:163], v[82:83], v[162:163]
	;; [unrolled: 1-line block ×4, first 2 shown]
	s_waitcnt vmcnt(5)
	v_mul_f64 v[222:223], v[22:23], v[174:175]
	v_fma_f64 v[212:213], v[212:213], v[88:89], v[224:225]
	v_mul_f64 v[224:225], v[32:33], v[170:171]
	v_fma_f64 v[88:89], v[44:45], v[88:89], -v[90:91]
	v_mul_f64 v[90:91], v[80:81], v[166:167]
	v_mul_f64 v[166:167], v[56:57], v[170:171]
	s_waitcnt lgkmcnt(0)
	v_mul_f64 v[170:171], v[54:55], v[174:175]
	v_fma_f64 v[106:107], v[216:217], v[112:113], v[106:107]
	v_fma_f64 v[94:95], v[94:95], v[108:109], v[122:123]
	;; [unrolled: 1-line block ×3, first 2 shown]
	v_fma_f64 v[38:39], v[38:39], v[136:137], -v[138:139]
	v_fma_f64 v[24:25], v[24:25], v[108:109], -v[110:111]
	s_waitcnt vmcnt(1)
	v_mul_f64 v[110:111], v[26:27], v[190:191]
	v_mul_f64 v[136:137], v[78:79], v[182:183]
	v_fma_f64 v[112:113], v[16:17], v[112:113], -v[114:115]
	v_mul_f64 v[114:115], v[18:19], v[178:179]
	v_mul_f64 v[174:175], v[12:13], v[182:183]
	;; [unrolled: 1-line block ×4, first 2 shown]
	v_fma_f64 v[118:119], v[62:63], v[140:141], v[118:119]
	v_fma_f64 v[140:141], v[42:43], v[140:141], -v[142:143]
	v_mul_f64 v[142:143], v[218:219], v[178:179]
	v_mul_f64 v[178:179], v[52:53], v[186:187]
	ds_load_2addr_b64 v[42:45], v255 offset0:85 offset1:102
	v_lshlrev_b64 v[16:17], 4, v[236:237]
	v_fma_f64 v[182:183], v[60:61], v[156:157], v[208:209]
	v_fma_f64 v[58:59], v[58:59], v[152:153], v[210:211]
	v_fma_f64 v[36:37], v[36:37], v[148:149], -v[131:132]
	v_fma_f64 v[34:35], v[34:35], v[152:153], -v[150:151]
	v_add_f64 v[186:187], v[158:159], v[204:205]
	v_add_f64 v[208:209], v[104:105], v[50:51]
	;; [unrolled: 1-line block ×3, first 2 shown]
	v_fma_f64 v[82:83], v[82:83], v[160:161], v[214:215]
	v_fma_f64 v[80:81], v[80:81], v[164:165], v[220:221]
	v_fma_f64 v[28:29], v[28:29], v[160:161], -v[162:163]
	v_add_f64 v[162:163], v[202:203], v[66:67]
	v_fma_f64 v[84:85], v[84:85], v[144:145], v[100:101]
	v_fma_f64 v[30:31], v[30:31], v[144:145], -v[146:147]
	v_add_f64 v[250:251], v[104:105], -v[76:77]
	v_fma_f64 v[102:103], v[192:193], v[148:149], v[102:103]
	v_fma_f64 v[40:41], v[40:41], v[156:157], -v[154:155]
	v_fma_f64 v[54:55], v[54:55], v[172:173], v[222:223]
	v_fma_f64 v[14:15], v[14:15], v[164:165], -v[90:91]
	v_fma_f64 v[32:33], v[32:33], v[168:169], -v[166:167]
	;; [unrolled: 1-line block ×3, first 2 shown]
	v_add_f64 v[100:101], v[198:199], -v[106:107]
	v_add_f64 v[131:132], v[70:71], -v[94:95]
	v_add_f64 v[164:165], v[196:197], v[206:207]
	v_add_f64 v[214:215], v[38:39], v[92:93]
	;; [unrolled: 1-line block ×3, first 2 shown]
	v_fma_f64 v[96:97], v[96:97], v[188:189], v[110:111]
	v_fma_f64 v[12:13], v[12:13], v[180:181], -v[136:137]
	v_add_f64 v[110:111], v[106:107], v[70:71]
	v_add_f64 v[136:137], v[198:199], v[94:95]
	v_fma_f64 v[90:91], v[218:219], v[176:177], v[114:115]
	v_fma_f64 v[78:79], v[78:79], v[180:181], v[174:175]
	;; [unrolled: 1-line block ×3, first 2 shown]
	v_fma_f64 v[26:27], v[26:27], v[188:189], -v[138:139]
	v_add_f64 v[108:109], v[94:95], -v[70:71]
	v_fma_f64 v[18:19], v[18:19], v[176:177], -v[142:143]
	v_fma_f64 v[20:21], v[20:21], v[184:185], -v[178:179]
	v_add_f64 v[114:115], v[106:107], -v[198:199]
	s_waitcnt lgkmcnt(0)
	v_add_f64 v[138:139], v[106:107], v[44:45]
	v_add_f64 v[146:147], v[112:113], v[72:73]
	;; [unrolled: 1-line block ×8, first 2 shown]
	v_fma_f64 v[56:57], v[56:57], v[168:169], v[224:225]
	v_add_f64 v[142:143], v[98:99], -v[112:113]
	v_add_f64 v[144:145], v[24:25], -v[72:73]
	;; [unrolled: 1-line block ×4, first 2 shown]
	v_add_f64 v[154:155], v[10:11], v[112:113]
	v_add_f64 v[156:157], v[196:197], -v[202:203]
	v_add_f64 v[160:161], v[206:207], -v[66:67]
	;; [unrolled: 1-line block ×4, first 2 shown]
	v_add_f64 v[170:171], v[202:203], v[42:43]
	v_add_f64 v[240:241], v[14:15], v[32:33]
	v_add_f64 v[172:173], v[86:87], -v[226:227]
	v_add_f64 v[178:179], v[120:121], -v[64:65]
	;; [unrolled: 1-line block ×4, first 2 shown]
	v_add_f64 v[194:195], v[8:9], v[226:227]
	v_add_f64 v[218:219], v[158:159], -v[200:201]
	v_add_f64 v[220:221], v[204:205], -v[74:75]
	;; [unrolled: 1-line block ×3, first 2 shown]
	v_fma_f64 v[110:111], v[110:111], -0.5, v[44:45]
	v_fma_f64 v[44:45], v[136:137], -0.5, v[44:45]
	;; [unrolled: 1-line block ×3, first 2 shown]
	v_add_f64 v[162:163], v[50:51], -v[116:117]
	v_add_f64 v[234:235], v[74:75], -v[204:205]
	;; [unrolled: 1-line block ×3, first 2 shown]
	v_fma_f64 v[42:43], v[164:165], -0.5, v[42:43]
	v_add_f64 v[164:165], v[2:3], v[104:105]
	v_fma_f64 v[208:209], v[208:209], -0.5, v[2:3]
	v_fma_f64 v[210:211], v[210:211], -0.5, v[2:3]
	;; [unrolled: 1-line block ×7, first 2 shown]
	v_add_f64 v[8:9], v[212:213], -v[122:123]
	v_add_f64 v[176:177], v[118:119], -v[68:69]
	v_fma_f64 v[216:217], v[216:217], -0.5, v[0:1]
	v_add_f64 v[2:3], v[68:69], -v[118:119]
	v_add_f64 v[114:115], v[114:115], v[131:132]
	v_add_f64 v[131:132], v[140:141], -v[92:93]
	v_add_f64 v[142:143], v[142:143], v[144:145]
	;; [unrolled: 2-line block ×6, first 2 shown]
	v_add_f64 v[222:223], v[102:103], v[58:59]
	v_add_f64 v[172:173], v[172:173], v[178:179]
	v_add_f64 v[178:179], v[102:103], -v[84:85]
	v_add_f64 v[180:181], v[180:181], v[192:193]
	v_add_f64 v[192:193], v[58:59], -v[182:183]
	v_add_f64 v[224:225], v[84:85], v[182:183]
	v_add_f64 v[218:219], v[218:219], v[220:221]
	v_add_f64 v[220:221], v[30:31], -v[36:37]
	v_add_f64 v[228:229], v[80:81], v[56:57]
	v_add_f64 v[230:231], v[82:83], v[54:55]
	;; [unrolled: 1-line block ×5, first 2 shown]
	v_add_f64 v[234:235], v[40:41], -v[34:35]
	v_add_f64 v[250:251], v[34:35], -v[40:41]
	v_add_f64 v[238:239], v[30:31], v[40:41]
	v_add_f64 v[198:199], v[198:199], -v[94:95]
	v_add_f64 v[154:155], v[98:99], v[154:155]
	v_add_f64 v[170:171], v[196:197], v[170:171]
	;; [unrolled: 1-line block ×3, first 2 shown]
	v_add_f64 v[98:99], v[98:99], -v[24:25]
	v_add_f64 v[196:197], v[196:197], -v[206:207]
	;; [unrolled: 1-line block ×4, first 2 shown]
	v_add_f64 v[176:177], v[8:9], v[176:177]
	v_add_f64 v[8:9], v[82:83], -v[80:81]
	v_add_f64 v[226:227], v[226:227], -v[64:65]
	;; [unrolled: 1-line block ×3, first 2 shown]
	scratch_store_b64 off, v[6:7], off offset:36 ; 8-byte Folded Spill
	v_add_f64 v[24:25], v[154:155], v[24:25]
	v_add_f64 v[154:155], v[12:13], -v[18:19]
	v_add_f64 v[170:171], v[206:207], v[170:171]
	v_add_f64 v[206:207], v[26:27], -v[20:21]
	s_delay_alu instid0(VALU_DEP_2) | instskip(NEXT) | instid1(VALU_DEP_2)
	v_add_f64 v[162:163], v[66:67], v[170:171]
	v_add_f64 v[154:155], v[154:155], v[206:207]
	s_waitcnt vmcnt(0)
	v_add_co_u32 v62, vcc_lo, s8, v46
	v_add_co_ci_u32_e32 v63, vcc_lo, s9, v47, vcc_lo
	ds_load_2addr_b64 v[46:49], v255 offset0:51 offset1:68
	v_add_co_u32 v16, vcc_lo, v62, v16
	v_add_co_ci_u32_e32 v17, vcc_lo, v63, v17, vcc_lo
	ds_load_2addr_b64 v[60:63], v255 offset0:17 offset1:34
	v_dual_mov_b32 v255, v246 :: v_dual_mov_b32 v254, v245
	v_dual_mov_b32 v253, v244 :: v_dual_mov_b32 v252, v243
	v_add_f64 v[242:243], v[28:29], v[22:23]
	v_add_f64 v[246:247], v[76:77], -v[104:105]
	s_delay_alu instid0(VALU_DEP_4)
	v_fma_f64 v[236:237], v[236:237], -0.5, v[254:255]
	v_fma_f64 v[238:239], v[238:239], -0.5, v[254:255]
	;; [unrolled: 1-line block ×3, first 2 shown]
	v_add_f64 v[76:77], v[76:77], -v[116:117]
	v_add_f64 v[116:117], v[164:165], v[116:117]
	v_add_f64 v[164:165], v[4:5], v[12:13]
	s_mov_b32 s9, 0x3fee6f0e
	s_mov_b32 s8, s6
	s_waitcnt lgkmcnt(1)
	v_add_f64 v[244:245], v[200:201], v[48:49]
	v_fma_f64 v[184:185], v[184:185], -0.5, v[48:49]
	v_fma_f64 v[48:49], v[186:187], -0.5, v[48:49]
	;; [unrolled: 1-line block ×4, first 2 shown]
	v_add_f64 v[128:129], v[122:123], v[46:47]
	v_add_f64 v[190:191], v[122:123], -v[212:213]
	v_add_f64 v[46:47], v[0:1], v[38:39]
	v_add_f64 v[0:1], v[252:253], v[14:15]
	s_waitcnt lgkmcnt(0)
	v_add_f64 v[126:127], v[102:103], v[62:63]
	v_fma_f64 v[222:223], v[222:223], -0.5, v[62:63]
	v_fma_f64 v[62:63], v[224:225], -0.5, v[62:63]
	;; [unrolled: 1-line block ×4, first 2 shown]
	v_add_f64 v[60:61], v[80:81], v[60:61]
	v_add_f64 v[230:231], v[254:255], v[36:37]
	v_add_f64 v[104:105], v[104:105], -v[50:51]
	v_add_f64 v[200:201], v[200:201], -v[74:75]
	;; [unrolled: 1-line block ×4, first 2 shown]
	v_fma_f64 v[242:243], v[242:243], -0.5, v[252:253]
	v_add_f64 v[252:253], v[100:101], v[108:109]
	v_add_f64 v[108:109], v[88:89], -v[38:39]
	v_add_f64 v[246:247], v[246:247], v[248:249]
	v_add_f64 v[248:249], v[36:37], -v[30:31]
	v_add_f64 v[38:39], v[38:39], -v[92:93]
	;; [unrolled: 1-line block ×3, first 2 shown]
	v_add_f64 v[190:191], v[190:191], v[2:3]
	v_add_f64 v[2:3], v[54:55], -v[56:57]
	v_add_f64 v[126:127], v[84:85], v[126:127]
	v_add_f64 v[84:85], v[84:85], -v[182:183]
	v_add_f64 v[60:61], v[82:83], v[60:61]
	v_add_f64 v[230:231], v[30:31], v[230:231]
	v_add_f64 v[30:31], v[30:31], -v[40:41]
	v_fma_f64 v[170:171], v[104:105], s[8:9], v[48:49]
	v_fma_f64 v[48:49], v[104:105], s[6:7], v[48:49]
	v_add_f64 v[6:7], v[108:109], v[131:132]
	v_add_f64 v[108:109], v[80:81], -v[82:83]
	v_add_f64 v[131:132], v[56:57], -v[54:55]
	;; [unrolled: 1-line block ×4, first 2 shown]
	v_add_f64 v[126:127], v[182:183], v[126:127]
	v_add_f64 v[54:55], v[54:55], v[60:61]
	;; [unrolled: 1-line block ×3, first 2 shown]
	v_fma_f64 v[170:171], v[76:77], s[2:3], v[170:171]
	scratch_store_b64 off, v[6:7], off offset:28 ; 8-byte Folded Spill
	v_add_f64 v[6:7], v[144:145], v[150:151]
	v_add_f64 v[144:145], v[160:161], v[168:169]
	v_add_f64 v[160:161], v[28:29], -v[14:15]
	v_add_f64 v[168:169], v[178:179], v[192:193]
	v_add_f64 v[178:179], v[22:23], -v[32:33]
	;; [unrolled: 2-line block ×5, first 2 shown]
	v_add_f64 v[8:9], v[52:53], -v[96:97]
	v_add_f64 v[108:109], v[108:109], v[131:132]
	v_fma_f64 v[230:231], v[80:81], s[8:9], v[242:243]
	v_mul_hi_u32 v150, 0x44d72045, v130
	scratch_store_b64 off, v[6:7], off offset:20 ; 8-byte Folded Spill
	v_mul_hi_u32 v6, 0x44d72045, v133
	v_add_f64 v[131:132], v[160:161], v[178:179]
	v_add_f64 v[160:161], v[78:79], -v[90:91]
	v_add_f64 v[178:179], v[220:221], v[248:249]
	v_add_f64 v[220:221], v[96:97], -v[52:53]
	v_lshrrev_b32_e32 v6, 5, v6
	v_add_f64 v[248:249], v[2:3], v[8:9]
	v_add_f64 v[2:3], v[18:19], -v[12:13]
	v_add_f64 v[8:9], v[20:21], -v[26:27]
	s_delay_alu instid0(VALU_DEP_4) | instskip(SKIP_1) | instid1(VALU_DEP_3)
	v_mul_u32_u24_e32 v124, 0x1dc, v6
	v_add_f64 v[100:101], v[160:161], v[220:221]
	v_add_f64 v[220:221], v[2:3], v[8:9]
	v_add_f64 v[2:3], v[78:79], v[96:97]
	v_add_f64 v[8:9], v[94:95], v[138:139]
	v_add_f64 v[94:95], v[90:91], v[52:53]
	v_add_f64 v[138:139], v[86:87], v[194:195]
	v_add_f64 v[194:195], v[158:159], v[244:245]
	ds_load_b64 v[244:245], v134
	v_add_f64 v[86:87], v[86:87], -v[120:121]
	v_add_f64 v[158:159], v[158:159], -v[204:205]
	;; [unrolled: 1-line block ×3, first 2 shown]
	v_add_f64 v[14:15], v[28:29], v[0:1]
	v_add_f64 v[28:29], v[28:29], -v[22:23]
	v_add_f64 v[0:1], v[12:13], -v[26:27]
	s_waitcnt lgkmcnt(0)
	v_add_f64 v[6:7], v[78:79], v[244:245]
	v_add_f64 v[78:79], v[78:79], -v[96:97]
	v_fma_f64 v[254:255], v[2:3], -0.5, v[244:245]
	v_add_f64 v[2:3], v[18:19], -v[20:21]
	v_fma_f64 v[94:95], v[94:95], -0.5, v[244:245]
	v_add_f64 v[120:121], v[138:139], v[120:121]
	v_add_f64 v[138:139], v[12:13], v[26:27]
	;; [unrolled: 1-line block ×6, first 2 shown]
	v_add_f64 v[88:89], v[88:89], -v[140:141]
	v_add_f64 v[212:213], v[212:213], -v[118:119]
	v_add_f64 v[206:207], v[70:71], v[8:9]
	v_fma_f64 v[70:71], v[198:199], s[6:7], v[146:147]
	v_fma_f64 v[66:67], v[86:87], s[8:9], v[136:137]
	v_add_f64 v[8:9], v[116:117], v[50:51]
	v_fma_f64 v[50:51], v[196:197], s[8:9], v[152:153]
	v_fma_f64 v[116:117], v[202:203], s[6:7], v[174:175]
	;; [unrolled: 1-line block ×3, first 2 shown]
	v_add_f64 v[22:23], v[14:15], v[22:23]
	v_fma_f64 v[14:15], v[38:39], s[8:9], v[188:189]
	v_fma_f64 v[188:189], v[38:39], s[6:7], v[188:189]
	v_add_f64 v[12:13], v[90:91], v[6:7]
	v_add_f64 v[6:7], v[18:19], v[164:165]
	v_fma_f64 v[18:19], v[98:99], s[6:7], v[110:111]
	v_fma_f64 v[110:111], v[98:99], s[8:9], v[110:111]
	;; [unrolled: 1-line block ×4, first 2 shown]
	v_add_f64 v[90:91], v[90:91], -v[52:53]
	v_add_f64 v[160:161], v[120:121], v[64:65]
	v_fma_f64 v[138:139], v[138:139], -0.5, v[4:5]
	v_fma_f64 v[64:65], v[86:87], s[6:7], v[136:137]
	v_fma_f64 v[4:5], v[204:205], -0.5, v[4:5]
	v_add_f64 v[204:205], v[24:25], v[72:73]
	v_fma_f64 v[24:25], v[198:199], s[8:9], v[146:147]
	v_fma_f64 v[72:73], v[106:107], s[6:7], v[10:11]
	;; [unrolled: 1-line block ×5, first 2 shown]
	v_add_f64 v[10:11], v[74:75], v[194:195]
	v_fma_f64 v[74:75], v[196:197], s[6:7], v[152:153]
	v_add_f64 v[46:47], v[118:119], v[46:47]
	v_fma_f64 v[118:119], v[76:77], s[6:7], v[184:185]
	v_fma_f64 v[152:153], v[76:77], s[8:9], v[184:185]
	;; [unrolled: 1-line block ×3, first 2 shown]
	v_add_f64 v[140:141], v[244:245], v[140:141]
	v_fma_f64 v[174:175], v[158:159], s[8:9], v[208:209]
	v_fma_f64 v[184:185], v[200:201], s[6:7], v[210:211]
	;; [unrolled: 1-line block ×5, first 2 shown]
	v_add_f64 v[52:53], v[52:53], v[12:13]
	v_fma_f64 v[12:13], v[212:213], s[8:9], v[214:215]
	v_fma_f64 v[208:209], v[212:213], s[6:7], v[214:215]
	v_add_f64 v[6:7], v[6:7], v[20:21]
	v_fma_f64 v[20:21], v[122:123], s[6:7], v[216:217]
	v_fma_f64 v[210:211], v[122:123], s[8:9], v[216:217]
	;; [unrolled: 1-line block ×38, first 2 shown]
	v_add_f64 v[14:15], v[68:69], v[46:47]
	v_fma_f64 v[38:39], v[122:123], s[4:5], v[12:13]
	v_fma_f64 v[122:123], v[122:123], s[2:3], v[208:209]
	;; [unrolled: 1-line block ×4, first 2 shown]
	v_add_f64 v[12:13], v[140:141], v[92:93]
	v_fma_f64 v[139:140], v[36:37], s[2:3], v[18:19]
	v_fma_f64 v[212:213], v[36:37], s[4:5], v[112:113]
	;; [unrolled: 1-line block ×16, first 2 shown]
	v_add_f64 v[28:29], v[96:97], v[52:53]
	v_fma_f64 v[52:53], v[156:157], s[0:1], v[66:67]
	v_fma_f64 v[98:99], v[80:81], s[4:5], v[42:43]
	;; [unrolled: 1-line block ×15, first 2 shown]
	v_add_f64 v[20:21], v[58:59], v[126:127]
	v_fma_f64 v[126:127], v[102:103], s[4:5], v[24:25]
	v_add_f64 v[26:27], v[6:7], v[26:27]
	v_add_f64 v[24:25], v[56:57], v[54:55]
	;; [unrolled: 1-line block ×3, first 2 shown]
	v_fma_f64 v[60:61], v[166:167], s[0:1], v[86:87]
	v_add_f64 v[18:19], v[40:41], v[34:35]
	v_fma_f64 v[56:57], v[166:167], s[0:1], v[120:121]
	v_fma_f64 v[96:97], v[218:219], s[0:1], v[118:119]
	;; [unrolled: 1-line block ×23, first 2 shown]
	scratch_load_b64 v[30:31], off, off offset:28 ; 8-byte Folded Reload
	v_fma_f64 v[194:195], v[84:85], s[4:5], v[194:195]
	v_fma_f64 v[226:227], v[84:85], s[2:3], v[238:239]
	;; [unrolled: 1-line block ×10, first 2 shown]
	scratch_load_b64 v[40:41], off, off offset:36 ; 8-byte Folded Reload
	v_lshlrev_b64 v[254:255], 4, v[124:125]
	v_add_co_u32 v242, vcc_lo, 0x1000, v16
	v_add_co_ci_u32_e32 v243, vcc_lo, 0, v17, vcc_lo
	v_fma_f64 v[42:43], v[148:149], s[0:1], v[146:147]
	v_fma_f64 v[148:149], v[168:169], s[0:1], v[36:37]
	;; [unrolled: 1-line block ×22, first 2 shown]
	s_waitcnt vmcnt(1)
	v_fma_f64 v[110:111], v[30:31], s[0:1], v[38:39]
	v_fma_f64 v[134:135], v[30:31], s[0:1], v[122:123]
	scratch_load_b64 v[30:31], off, off offset:20 ; 8-byte Folded Reload
	s_clause 0x9
	global_store_b128 v[16:17], v[26:29], off
	global_store_b128 v[16:17], v[22:25], off offset:272
	global_store_b128 v[16:17], v[78:81], off offset:1904
	;; [unrolled: 1-line block ×9, first 2 shown]
	v_add_co_u32 v22, vcc_lo, v16, v254
	v_add_co_ci_u32_e32 v23, vcc_lo, v17, v255, vcc_lo
	v_lshrrev_b32_e32 v26, 5, v150
	s_delay_alu instid0(VALU_DEP_3) | instskip(NEXT) | instid1(VALU_DEP_3)
	v_add_co_u32 v24, vcc_lo, 0x220, v22
	v_add_co_ci_u32_e32 v25, vcc_lo, 0, v23, vcc_lo
	s_delay_alu instid0(VALU_DEP_3)
	v_mul_u32_u24_e32 v124, 0x1dc, v26
	v_add_co_u32 v26, vcc_lo, 0x1000, v22
	v_add_co_ci_u32_e32 v27, vcc_lo, 0, v23, vcc_lo
	s_clause 0x3
	global_store_b128 v[22:23], v[18:21], off offset:544
	global_store_b128 v[22:23], v[130:133], off offset:2448
	;; [unrolled: 1-line block ×4, first 2 shown]
	scratch_load_b32 v18, off, off offset:12 ; 4-byte Folded Reload
	v_lshlrev_b64 v[28:29], 4, v[124:125]
	global_store_b128 v[26:27], v[146:149], off offset:4064
	s_waitcnt vmcnt(2)
	v_fma_f64 v[106:107], v[40:41], s[0:1], v[158:159]
	v_fma_f64 v[102:103], v[40:41], s[0:1], v[184:185]
	s_waitcnt vmcnt(1)
	v_fma_f64 v[142:143], v[30:31], s[0:1], v[210:211]
	v_fma_f64 v[138:139], v[30:31], s[0:1], v[208:209]
	s_waitcnt vmcnt(0)
	v_mul_hi_u32 v22, 0x44d72045, v18
	v_add_co_u32 v18, vcc_lo, v16, v28
	v_add_co_ci_u32_e32 v19, vcc_lo, v17, v29, vcc_lo
	s_delay_alu instid0(VALU_DEP_2) | instskip(NEXT) | instid1(VALU_DEP_2)
	v_add_co_u32 v20, vcc_lo, 0x330, v18
	v_add_co_ci_u32_e32 v21, vcc_lo, 0, v19, vcc_lo
	v_lshrrev_b32_e32 v24, 5, v22
	v_add_co_u32 v22, vcc_lo, 0x1000, v18
	v_add_co_ci_u32_e32 v23, vcc_lo, 0, v19, vcc_lo
	s_clause 0x3
	global_store_b128 v[18:19], v[12:15], off offset:816
	global_store_b128 v[18:19], v[142:145], off offset:2720
	;; [unrolled: 1-line block ×4, first 2 shown]
	v_add_co_u32 v14, vcc_lo, 0x2000, v18
	scratch_load_b32 v18, off, off offset:4 ; 4-byte Folded Reload
	v_mul_u32_u24_e32 v124, 0x1dc, v24
	v_add_co_ci_u32_e32 v15, vcc_lo, 0, v19, vcc_lo
	s_delay_alu instid0(VALU_DEP_2) | instskip(SKIP_3) | instid1(VALU_DEP_2)
	v_lshlrev_b64 v[12:13], 4, v[124:125]
	global_store_b128 v[14:15], v[138:141], off offset:240
	v_add_co_u32 v12, vcc_lo, v16, v12
	v_add_co_ci_u32_e32 v13, vcc_lo, v17, v13, vcc_lo
	v_add_co_u32 v14, vcc_lo, 0x440, v12
	s_delay_alu instid0(VALU_DEP_2) | instskip(SKIP_2) | instid1(VALU_DEP_1)
	v_add_co_ci_u32_e32 v15, vcc_lo, 0, v13, vcc_lo
	s_waitcnt vmcnt(0)
	v_mul_hi_u32 v18, 0x44d72045, v18
	v_lshrrev_b32_e32 v20, 5, v18
	v_add_co_u32 v18, vcc_lo, 0x1000, v12
	v_add_co_ci_u32_e32 v19, vcc_lo, 0, v13, vcc_lo
	s_clause 0x3
	global_store_b128 v[12:13], v[8:11], off offset:1088
	global_store_b128 v[12:13], v[106:109], off offset:2992
	;; [unrolled: 1-line block ×4, first 2 shown]
	v_add_co_u32 v10, vcc_lo, 0x2000, v12
	scratch_load_b32 v12, off, off          ; 4-byte Folded Reload
	v_mul_u32_u24_e32 v124, 0x1dc, v20
	v_add_co_ci_u32_e32 v11, vcc_lo, 0, v13, vcc_lo
	s_delay_alu instid0(VALU_DEP_2) | instskip(SKIP_3) | instid1(VALU_DEP_2)
	v_lshlrev_b64 v[8:9], 4, v[124:125]
	global_store_b128 v[10:11], v[102:105], off offset:512
	v_add_co_u32 v8, vcc_lo, v16, v8
	v_add_co_ci_u32_e32 v9, vcc_lo, v17, v9, vcc_lo
	v_add_co_u32 v10, vcc_lo, 0x550, v8
	s_delay_alu instid0(VALU_DEP_2) | instskip(SKIP_2) | instid1(VALU_DEP_1)
	v_add_co_ci_u32_e32 v11, vcc_lo, 0, v9, vcc_lo
	s_waitcnt vmcnt(0)
	v_mul_hi_u32 v12, 0x44d72045, v12
	v_lshrrev_b32_e32 v14, 5, v12
	v_add_co_u32 v12, vcc_lo, 0x1000, v8
	v_add_co_ci_u32_e32 v13, vcc_lo, 0, v9, vcc_lo
	s_delay_alu instid0(VALU_DEP_3)
	v_mul_u32_u24_e32 v124, 0x1dc, v14
	s_clause 0x3
	global_store_b128 v[8:9], v[160:163], off offset:1360
	global_store_b128 v[8:9], v[58:61], off offset:3264
	global_store_b128 v[10:11], v[50:53], off offset:3808
	global_store_b128 v[12:13], v[46:49], off offset:2976
	v_add_co_u32 v8, vcc_lo, 0x2000, v8
	v_add_co_ci_u32_e32 v9, vcc_lo, 0, v9, vcc_lo
	v_lshlrev_b64 v[10:11], 4, v[124:125]
	global_store_b128 v[8:9], v[54:57], off offset:784
	v_add_co_u32 v10, vcc_lo, v16, v10
	v_add_co_ci_u32_e32 v11, vcc_lo, v17, v11, vcc_lo
	s_delay_alu instid0(VALU_DEP_2) | instskip(NEXT) | instid1(VALU_DEP_2)
	v_add_co_u32 v8, vcc_lo, 0x660, v10
	v_add_co_ci_u32_e32 v9, vcc_lo, 0, v11, vcc_lo
	v_add_co_u32 v12, vcc_lo, 0x1000, v10
	v_add_co_ci_u32_e32 v13, vcc_lo, 0, v11, vcc_lo
	;; [unrolled: 2-line block ×3, first 2 shown]
	s_clause 0x4
	global_store_b128 v[10:11], v[204:207], off offset:1632
	global_store_b128 v[10:11], v[42:45], off offset:3536
	;; [unrolled: 1-line block ×5, first 2 shown]
.LBB0_20:
	s_endpgm
	.section	.rodata,"a",@progbits
	.p2align	6, 0x0
	.amdhsa_kernel fft_rtc_fwd_len595_factors_7_17_5_wgs_51_tpt_17_halfLds_dp_ip_CI_unitstride_sbrr_dirReg
		.amdhsa_group_segment_fixed_size 0
		.amdhsa_private_segment_fixed_size 584
		.amdhsa_kernarg_size 88
		.amdhsa_user_sgpr_count 15
		.amdhsa_user_sgpr_dispatch_ptr 0
		.amdhsa_user_sgpr_queue_ptr 0
		.amdhsa_user_sgpr_kernarg_segment_ptr 1
		.amdhsa_user_sgpr_dispatch_id 0
		.amdhsa_user_sgpr_private_segment_size 0
		.amdhsa_wavefront_size32 1
		.amdhsa_uses_dynamic_stack 0
		.amdhsa_enable_private_segment 1
		.amdhsa_system_sgpr_workgroup_id_x 1
		.amdhsa_system_sgpr_workgroup_id_y 0
		.amdhsa_system_sgpr_workgroup_id_z 0
		.amdhsa_system_sgpr_workgroup_info 0
		.amdhsa_system_vgpr_workitem_id 0
		.amdhsa_next_free_vgpr 256
		.amdhsa_next_free_sgpr 56
		.amdhsa_reserve_vcc 1
		.amdhsa_float_round_mode_32 0
		.amdhsa_float_round_mode_16_64 0
		.amdhsa_float_denorm_mode_32 3
		.amdhsa_float_denorm_mode_16_64 3
		.amdhsa_dx10_clamp 1
		.amdhsa_ieee_mode 1
		.amdhsa_fp16_overflow 0
		.amdhsa_workgroup_processor_mode 1
		.amdhsa_memory_ordered 1
		.amdhsa_forward_progress 0
		.amdhsa_shared_vgpr_count 0
		.amdhsa_exception_fp_ieee_invalid_op 0
		.amdhsa_exception_fp_denorm_src 0
		.amdhsa_exception_fp_ieee_div_zero 0
		.amdhsa_exception_fp_ieee_overflow 0
		.amdhsa_exception_fp_ieee_underflow 0
		.amdhsa_exception_fp_ieee_inexact 0
		.amdhsa_exception_int_div_zero 0
	.end_amdhsa_kernel
	.text
.Lfunc_end0:
	.size	fft_rtc_fwd_len595_factors_7_17_5_wgs_51_tpt_17_halfLds_dp_ip_CI_unitstride_sbrr_dirReg, .Lfunc_end0-fft_rtc_fwd_len595_factors_7_17_5_wgs_51_tpt_17_halfLds_dp_ip_CI_unitstride_sbrr_dirReg
                                        ; -- End function
	.section	.AMDGPU.csdata,"",@progbits
; Kernel info:
; codeLenInByte = 36532
; NumSgprs: 58
; NumVgprs: 256
; ScratchSize: 584
; MemoryBound: 1
; FloatMode: 240
; IeeeMode: 1
; LDSByteSize: 0 bytes/workgroup (compile time only)
; SGPRBlocks: 7
; VGPRBlocks: 31
; NumSGPRsForWavesPerEU: 58
; NumVGPRsForWavesPerEU: 256
; Occupancy: 5
; WaveLimiterHint : 1
; COMPUTE_PGM_RSRC2:SCRATCH_EN: 1
; COMPUTE_PGM_RSRC2:USER_SGPR: 15
; COMPUTE_PGM_RSRC2:TRAP_HANDLER: 0
; COMPUTE_PGM_RSRC2:TGID_X_EN: 1
; COMPUTE_PGM_RSRC2:TGID_Y_EN: 0
; COMPUTE_PGM_RSRC2:TGID_Z_EN: 0
; COMPUTE_PGM_RSRC2:TIDIG_COMP_CNT: 0
	.text
	.p2alignl 7, 3214868480
	.fill 96, 4, 3214868480
	.type	__hip_cuid_bc290f7edd3b0d34,@object ; @__hip_cuid_bc290f7edd3b0d34
	.section	.bss,"aw",@nobits
	.globl	__hip_cuid_bc290f7edd3b0d34
__hip_cuid_bc290f7edd3b0d34:
	.byte	0                               ; 0x0
	.size	__hip_cuid_bc290f7edd3b0d34, 1

	.ident	"AMD clang version 19.0.0git (https://github.com/RadeonOpenCompute/llvm-project roc-6.4.0 25133 c7fe45cf4b819c5991fe208aaa96edf142730f1d)"
	.section	".note.GNU-stack","",@progbits
	.addrsig
	.addrsig_sym __hip_cuid_bc290f7edd3b0d34
	.amdgpu_metadata
---
amdhsa.kernels:
  - .args:
      - .actual_access:  read_only
        .address_space:  global
        .offset:         0
        .size:           8
        .value_kind:     global_buffer
      - .offset:         8
        .size:           8
        .value_kind:     by_value
      - .actual_access:  read_only
        .address_space:  global
        .offset:         16
        .size:           8
        .value_kind:     global_buffer
      - .actual_access:  read_only
        .address_space:  global
        .offset:         24
        .size:           8
        .value_kind:     global_buffer
      - .offset:         32
        .size:           8
        .value_kind:     by_value
      - .actual_access:  read_only
        .address_space:  global
        .offset:         40
        .size:           8
        .value_kind:     global_buffer
      - .actual_access:  read_only
        .address_space:  global
        .offset:         48
        .size:           8
        .value_kind:     global_buffer
      - .offset:         56
        .size:           4
        .value_kind:     by_value
      - .actual_access:  read_only
        .address_space:  global
        .offset:         64
        .size:           8
        .value_kind:     global_buffer
      - .actual_access:  read_only
        .address_space:  global
        .offset:         72
        .size:           8
        .value_kind:     global_buffer
      - .address_space:  global
        .offset:         80
        .size:           8
        .value_kind:     global_buffer
    .group_segment_fixed_size: 0
    .kernarg_segment_align: 8
    .kernarg_segment_size: 88
    .language:       OpenCL C
    .language_version:
      - 2
      - 0
    .max_flat_workgroup_size: 51
    .name:           fft_rtc_fwd_len595_factors_7_17_5_wgs_51_tpt_17_halfLds_dp_ip_CI_unitstride_sbrr_dirReg
    .private_segment_fixed_size: 584
    .sgpr_count:     58
    .sgpr_spill_count: 0
    .symbol:         fft_rtc_fwd_len595_factors_7_17_5_wgs_51_tpt_17_halfLds_dp_ip_CI_unitstride_sbrr_dirReg.kd
    .uniform_work_group_size: 1
    .uses_dynamic_stack: false
    .vgpr_count:     256
    .vgpr_spill_count: 164
    .wavefront_size: 32
    .workgroup_processor_mode: 1
amdhsa.target:   amdgcn-amd-amdhsa--gfx1100
amdhsa.version:
  - 1
  - 2
...

	.end_amdgpu_metadata
